;; amdgpu-corpus repo=zjin-lcf/HeCBench kind=compiled arch=gfx950 opt=O3
	.amdgcn_target "amdgcn-amd-amdhsa--gfx950"
	.amdhsa_code_object_version 6
	.section	.text._Z34scaled_masked_softmax_warp_forwardI6__halfS0_fLi0EEvPT0_PKT_PKhT1_iii,"axG",@progbits,_Z34scaled_masked_softmax_warp_forwardI6__halfS0_fLi0EEvPT0_PKT_PKhT1_iii,comdat
	.protected	_Z34scaled_masked_softmax_warp_forwardI6__halfS0_fLi0EEvPT0_PKT_PKhT1_iii ; -- Begin function _Z34scaled_masked_softmax_warp_forwardI6__halfS0_fLi0EEvPT0_PKT_PKhT1_iii
	.globl	_Z34scaled_masked_softmax_warp_forwardI6__halfS0_fLi0EEvPT0_PKT_PKhT1_iii
	.p2align	8
	.type	_Z34scaled_masked_softmax_warp_forwardI6__halfS0_fLi0EEvPT0_PKT_PKhT1_iii,@function
_Z34scaled_masked_softmax_warp_forwardI6__halfS0_fLi0EEvPT0_PKT_PKhT1_iii: ; @_Z34scaled_masked_softmax_warp_forwardI6__halfS0_fLi0EEvPT0_PKT_PKhT1_iii
; %bb.0:
	s_load_dword s5, s[0:1], 0x34
	s_load_dwordx4 s[8:11], s[0:1], 0x18
	s_load_dwordx2 s[6:7], s[0:1], 0x28
	s_waitcnt lgkmcnt(0)
	s_lshr_b32 s5, s5, 16
	s_cmp_eq_u32 s11, 1
	s_mov_b32 s11, s2
	s_cbranch_scc1 .LBB0_2
; %bb.1:
	s_mul_i32 s11, s6, s4
	s_add_i32 s11, s11, s2
.LBB0_2:
	s_mul_i32 s4, s7, s4
	s_add_i32 s4, s4, s3
	s_mul_i32 s3, s6, s4
	s_and_b32 s12, 0xffff, s5
	s_add_i32 s2, s3, s2
	s_mul_i32 s2, s2, s12
	v_bfe_u32 v2, v0, 10, 10
	v_add_lshl_u32 v1, s2, v2, 1
	v_sub_u32_e32 v3, s9, v1
	v_cmp_lt_i32_e32 vcc, 0, v3
	s_and_saveexec_b64 s[2:3], vcc
	s_cbranch_execz .LBB0_15
; %bb.3:
	s_load_dwordx4 s[4:7], s[0:1], 0x0
	s_load_dwordx2 s[2:3], s[0:1], 0x10
	s_mul_i32 s0, s11, s12
	v_add_u32_e32 v8, s0, v2
	v_and_b32_e32 v2, 0x3ff, v0
	v_mul_lo_u32 v0, s10, v8
	v_mad_u64_u32 v[4:5], s[0:1], v1, s10, v[2:3]
	v_lshl_add_u32 v0, v0, 1, v2
	s_waitcnt lgkmcnt(0)
	v_mov_b32_e32 v6, s6
	v_mov_b32_e32 v7, s7
	v_ashrrev_i32_e32 v5, 31, v4
	v_ashrrev_i32_e32 v1, 31, v0
	v_lshl_add_u64 v[6:7], v[4:5], 1, v[6:7]
	v_lshl_add_u64 v[8:9], s[2:3], 0, v[0:1]
	v_cmp_le_i32_e32 vcc, s10, v2
	v_cmp_gt_i32_e64 s[0:1], s10, v2
	v_mov_b32_e32 v0, 0xff800000
	v_mov_b32_e32 v1, 0
	s_and_saveexec_b64 s[2:3], s[0:1]
	s_cbranch_execz .LBB0_5
; %bb.4:
	global_load_ushort v0, v[6:7], off
	global_load_ubyte v10, v[8:9], off
	v_mov_b32_e32 v11, 0xc61c4000
	s_waitcnt vmcnt(1)
	v_cvt_f32_f16_e32 v0, v0
	s_waitcnt vmcnt(0)
	v_cmp_ne_u16_e64 s[0:1], 1, v10
	v_mul_f32_e32 v0, s8, v0
	s_nop 0
	v_cndmask_b32_e64 v0, v11, v0, s[0:1]
.LBB0_5:
	s_or_b64 exec, exec, s[2:3]
	v_cmp_eq_u32_e64 s[0:1], 1, v3
	v_cmp_ne_u32_e64 s[2:3], 1, v3
	s_and_saveexec_b64 s[6:7], s[2:3]
	s_xor_b64 s[2:3], exec, s[6:7]
	s_cbranch_execz .LBB0_11
; %bb.6:
	s_and_saveexec_b64 s[6:7], vcc
	s_xor_b64 s[6:7], exec, s[6:7]
; %bb.7:
	v_mov_b32_e32 v1, 0xff800000
                                        ; implicit-def: $vgpr8_vgpr9
                                        ; implicit-def: $vgpr6_vgpr7
; %bb.8:
	s_andn2_saveexec_b64 s[6:7], s[6:7]
	s_cbranch_execz .LBB0_10
; %bb.9:
	s_mov_b32 s11, 0
	v_lshl_add_u64 v[6:7], s[10:11], 1, v[6:7]
	global_load_ushort v1, v[6:7], off
	v_lshl_add_u64 v[6:7], v[8:9], 0, s[10:11]
	global_load_ubyte v3, v[6:7], off
	v_mov_b32_e32 v6, 0xc61c4000
	s_waitcnt vmcnt(1)
	v_cvt_f32_f16_e32 v1, v1
	s_waitcnt vmcnt(0)
	v_cmp_eq_u16_e32 vcc, 1, v3
	v_mul_f32_e32 v1, s8, v1
	s_nop 0
	v_cndmask_b32_e32 v1, v1, v6, vcc
.LBB0_10:
	s_or_b64 exec, exec, s[6:7]
.LBB0_11:
	s_or_b64 exec, exec, s[2:3]
	v_mov_b32_e32 v6, s4
	v_mov_b32_e32 v7, s5
	v_lshl_add_u64 v[4:5], v[4:5], 1, v[6:7]
	v_pk_add_f32 v[6:7], v[0:1], v[0:1] neg_lo:[0,1] neg_hi:[0,1]
	v_cmp_le_i32_e64 s[2:3], s10, v2
	v_cmp_gt_i32_e32 vcc, s10, v2
	s_and_saveexec_b64 s[4:5], vcc
	s_cbranch_execz .LBB0_13
; %bb.12:
	v_mul_f32_e32 v2, 0x3fb8aa3b, v6
	s_mov_b32 s6, 0x3fb8aa3b
	v_rndne_f32_e32 v3, v2
	v_sub_f32_e32 v8, v2, v3
	v_fma_f32 v2, v6, s6, -v2
	v_fmamk_f32 v2, v6, 0x32a5705f, v2
	v_add_f32_e32 v2, v8, v2
	v_exp_f32_e32 v2, v2
	v_cvt_i32_f32_e32 v3, v3
	s_mov_b32 s6, 0xc2ce8ed0
	v_cmp_ngt_f32_e32 vcc, s6, v6
	s_mov_b32 s6, 0x42b17218
	v_ldexp_f32 v2, v2, v3
	v_cndmask_b32_e32 v2, 0, v2, vcc
	v_mov_b32_e32 v3, 0x7f800000
	v_cmp_nlt_f32_e32 vcc, s6, v6
	s_mov_b32 s6, 0xc61c4000
	s_nop 0
	v_cndmask_b32_e32 v2, v3, v2, vcc
	v_div_scale_f32 v3, vcc, v2, v2, v2
	v_rcp_f32_e32 v6, v3
	s_nop 0
	v_fma_f32 v8, -v3, v6, 1.0
	v_fmac_f32_e32 v6, v8, v6
	v_mul_f32_e32 v8, v3, v6
	v_fma_f32 v9, -v3, v8, v3
	v_fmac_f32_e32 v8, v9, v6
	v_fma_f32 v3, -v3, v8, v3
	v_div_fmas_f32 v3, v3, v6, v8
	v_div_fixup_f32 v2, v3, v2, v2
	v_cvt_f16_f32_e32 v2, v2
	v_cmp_neq_f32_e32 vcc, s6, v0
	s_nop 1
	v_cndmask_b32_e32 v0, 0, v2, vcc
	global_store_short v[4:5], v0, off
.LBB0_13:
	s_or_b64 exec, exec, s[4:5]
	s_nor_b64 s[0:1], s[0:1], s[2:3]
	s_and_saveexec_b64 s[2:3], s[0:1]
	s_xor_b64 s[2:3], exec, s[2:3]
	s_cbranch_execz .LBB0_15
; %bb.14:
	v_mul_f32_e32 v0, 0x3fb8aa3b, v7
	s_mov_b32 s0, 0x3fb8aa3b
	v_rndne_f32_e32 v2, v0
	v_sub_f32_e32 v3, v0, v2
	v_fma_f32 v0, v7, s0, -v0
	v_fmamk_f32 v0, v7, 0x32a5705f, v0
	v_add_f32_e32 v0, v3, v0
	v_exp_f32_e32 v0, v0
	v_cvt_i32_f32_e32 v2, v2
	s_mov_b32 s0, 0xc2ce8ed0
	v_cmp_ngt_f32_e32 vcc, s0, v7
	s_mov_b32 s0, 0x42b17218
	v_ldexp_f32 v0, v0, v2
	v_cndmask_b32_e32 v0, 0, v0, vcc
	v_mov_b32_e32 v2, 0x7f800000
	v_cmp_nlt_f32_e32 vcc, s0, v7
	s_mov_b32 s0, 0xc61c4000
	s_mov_b32 s11, 0
	v_cndmask_b32_e32 v0, v2, v0, vcc
	v_div_scale_f32 v2, vcc, v0, v0, v0
	v_rcp_f32_e32 v3, v2
	s_nop 0
	v_fma_f32 v6, -v2, v3, 1.0
	v_fmac_f32_e32 v3, v6, v3
	v_mul_f32_e32 v6, v2, v3
	v_fma_f32 v7, -v2, v6, v2
	v_fmac_f32_e32 v6, v7, v3
	v_fma_f32 v2, -v2, v6, v2
	v_div_fmas_f32 v2, v2, v3, v6
	v_div_fixup_f32 v0, v2, v0, v0
	v_cvt_f16_f32_e32 v0, v0
	v_cmp_neq_f32_e32 vcc, s0, v1
	v_lshl_add_u64 v[2:3], s[10:11], 1, v[4:5]
	s_nop 0
	v_cndmask_b32_e32 v0, 0, v0, vcc
	global_store_short v[2:3], v0, off
.LBB0_15:
	s_endpgm
	.section	.rodata,"a",@progbits
	.p2align	6, 0x0
	.amdhsa_kernel _Z34scaled_masked_softmax_warp_forwardI6__halfS0_fLi0EEvPT0_PKT_PKhT1_iii
		.amdhsa_group_segment_fixed_size 0
		.amdhsa_private_segment_fixed_size 0
		.amdhsa_kernarg_size 296
		.amdhsa_user_sgpr_count 2
		.amdhsa_user_sgpr_dispatch_ptr 0
		.amdhsa_user_sgpr_queue_ptr 0
		.amdhsa_user_sgpr_kernarg_segment_ptr 1
		.amdhsa_user_sgpr_dispatch_id 0
		.amdhsa_user_sgpr_kernarg_preload_length 0
		.amdhsa_user_sgpr_kernarg_preload_offset 0
		.amdhsa_user_sgpr_private_segment_size 0
		.amdhsa_uses_dynamic_stack 0
		.amdhsa_enable_private_segment 0
		.amdhsa_system_sgpr_workgroup_id_x 1
		.amdhsa_system_sgpr_workgroup_id_y 1
		.amdhsa_system_sgpr_workgroup_id_z 1
		.amdhsa_system_sgpr_workgroup_info 0
		.amdhsa_system_vgpr_workitem_id 1
		.amdhsa_next_free_vgpr 12
		.amdhsa_next_free_sgpr 13
		.amdhsa_accum_offset 12
		.amdhsa_reserve_vcc 1
		.amdhsa_float_round_mode_32 0
		.amdhsa_float_round_mode_16_64 0
		.amdhsa_float_denorm_mode_32 3
		.amdhsa_float_denorm_mode_16_64 3
		.amdhsa_dx10_clamp 1
		.amdhsa_ieee_mode 1
		.amdhsa_fp16_overflow 0
		.amdhsa_tg_split 0
		.amdhsa_exception_fp_ieee_invalid_op 0
		.amdhsa_exception_fp_denorm_src 0
		.amdhsa_exception_fp_ieee_div_zero 0
		.amdhsa_exception_fp_ieee_overflow 0
		.amdhsa_exception_fp_ieee_underflow 0
		.amdhsa_exception_fp_ieee_inexact 0
		.amdhsa_exception_int_div_zero 0
	.end_amdhsa_kernel
	.section	.text._Z34scaled_masked_softmax_warp_forwardI6__halfS0_fLi0EEvPT0_PKT_PKhT1_iii,"axG",@progbits,_Z34scaled_masked_softmax_warp_forwardI6__halfS0_fLi0EEvPT0_PKT_PKhT1_iii,comdat
.Lfunc_end0:
	.size	_Z34scaled_masked_softmax_warp_forwardI6__halfS0_fLi0EEvPT0_PKT_PKhT1_iii, .Lfunc_end0-_Z34scaled_masked_softmax_warp_forwardI6__halfS0_fLi0EEvPT0_PKT_PKhT1_iii
                                        ; -- End function
	.set _Z34scaled_masked_softmax_warp_forwardI6__halfS0_fLi0EEvPT0_PKT_PKhT1_iii.num_vgpr, 12
	.set _Z34scaled_masked_softmax_warp_forwardI6__halfS0_fLi0EEvPT0_PKT_PKhT1_iii.num_agpr, 0
	.set _Z34scaled_masked_softmax_warp_forwardI6__halfS0_fLi0EEvPT0_PKT_PKhT1_iii.numbered_sgpr, 13
	.set _Z34scaled_masked_softmax_warp_forwardI6__halfS0_fLi0EEvPT0_PKT_PKhT1_iii.num_named_barrier, 0
	.set _Z34scaled_masked_softmax_warp_forwardI6__halfS0_fLi0EEvPT0_PKT_PKhT1_iii.private_seg_size, 0
	.set _Z34scaled_masked_softmax_warp_forwardI6__halfS0_fLi0EEvPT0_PKT_PKhT1_iii.uses_vcc, 1
	.set _Z34scaled_masked_softmax_warp_forwardI6__halfS0_fLi0EEvPT0_PKT_PKhT1_iii.uses_flat_scratch, 0
	.set _Z34scaled_masked_softmax_warp_forwardI6__halfS0_fLi0EEvPT0_PKT_PKhT1_iii.has_dyn_sized_stack, 0
	.set _Z34scaled_masked_softmax_warp_forwardI6__halfS0_fLi0EEvPT0_PKT_PKhT1_iii.has_recursion, 0
	.set _Z34scaled_masked_softmax_warp_forwardI6__halfS0_fLi0EEvPT0_PKT_PKhT1_iii.has_indirect_call, 0
	.section	.AMDGPU.csdata,"",@progbits
; Kernel info:
; codeLenInByte = 916
; TotalNumSgprs: 19
; NumVgprs: 12
; NumAgprs: 0
; TotalNumVgprs: 12
; ScratchSize: 0
; MemoryBound: 0
; FloatMode: 240
; IeeeMode: 1
; LDSByteSize: 0 bytes/workgroup (compile time only)
; SGPRBlocks: 2
; VGPRBlocks: 1
; NumSGPRsForWavesPerEU: 19
; NumVGPRsForWavesPerEU: 12
; AccumOffset: 12
; Occupancy: 8
; WaveLimiterHint : 0
; COMPUTE_PGM_RSRC2:SCRATCH_EN: 0
; COMPUTE_PGM_RSRC2:USER_SGPR: 2
; COMPUTE_PGM_RSRC2:TRAP_HANDLER: 0
; COMPUTE_PGM_RSRC2:TGID_X_EN: 1
; COMPUTE_PGM_RSRC2:TGID_Y_EN: 1
; COMPUTE_PGM_RSRC2:TGID_Z_EN: 1
; COMPUTE_PGM_RSRC2:TIDIG_COMP_CNT: 1
; COMPUTE_PGM_RSRC3_GFX90A:ACCUM_OFFSET: 2
; COMPUTE_PGM_RSRC3_GFX90A:TG_SPLIT: 0
	.section	.text._Z34scaled_masked_softmax_warp_forwardI6__halfS0_fLi1EEvPT0_PKT_PKhT1_iii,"axG",@progbits,_Z34scaled_masked_softmax_warp_forwardI6__halfS0_fLi1EEvPT0_PKT_PKhT1_iii,comdat
	.protected	_Z34scaled_masked_softmax_warp_forwardI6__halfS0_fLi1EEvPT0_PKT_PKhT1_iii ; -- Begin function _Z34scaled_masked_softmax_warp_forwardI6__halfS0_fLi1EEvPT0_PKT_PKhT1_iii
	.globl	_Z34scaled_masked_softmax_warp_forwardI6__halfS0_fLi1EEvPT0_PKT_PKhT1_iii
	.p2align	8
	.type	_Z34scaled_masked_softmax_warp_forwardI6__halfS0_fLi1EEvPT0_PKT_PKhT1_iii,@function
_Z34scaled_masked_softmax_warp_forwardI6__halfS0_fLi1EEvPT0_PKT_PKhT1_iii: ; @_Z34scaled_masked_softmax_warp_forwardI6__halfS0_fLi1EEvPT0_PKT_PKhT1_iii
; %bb.0:
	s_load_dword s5, s[0:1], 0x34
	s_load_dwordx4 s[8:11], s[0:1], 0x18
	s_load_dwordx2 s[16:17], s[0:1], 0x28
	s_waitcnt lgkmcnt(0)
	s_lshr_b32 s5, s5, 16
	s_cmp_eq_u32 s11, 1
	s_mov_b32 s11, s2
	s_cbranch_scc1 .LBB1_2
; %bb.1:
	s_mul_i32 s6, s16, s4
	s_add_i32 s11, s6, s2
.LBB1_2:
	s_load_dwordx4 s[12:15], s[0:1], 0x0
	s_load_dwordx2 s[6:7], s[0:1], 0x10
	s_mul_i32 s1, s17, s4
	s_add_i32 s1, s1, s3
	s_mul_i32 s1, s16, s1
	s_and_b32 s0, 0xffff, s5
	s_add_i32 s1, s1, s2
	s_mul_i32 s1, s1, s0
	v_bfe_u32 v4, v0, 10, 10
	v_add_lshl_u32 v2, s1, v4, 1
	v_sub_u32_e32 v1, s9, v2
	v_and_b32_e32 v0, 0x3ff, v0
	v_mad_u64_u32 v[2:3], s[2:3], v2, s10, v[0:1]
	v_ashrrev_i32_e32 v3, 31, v2
	v_cmp_lt_i32_e32 vcc, 0, v1
	v_mov_b32_e32 v9, 0
	v_mov_b32_e32 v8, 0
	s_and_saveexec_b64 s[4:5], vcc
	s_cbranch_execz .LBB1_12
; %bb.3:
	s_mul_i32 s0, s11, s0
	s_waitcnt lgkmcnt(0)
	v_mov_b32_e32 v6, s14
	v_mov_b32_e32 v7, s15
	v_add_u32_e32 v8, s0, v4
	v_lshl_add_u64 v[4:5], v[2:3], 1, v[6:7]
	v_mul_lo_u32 v6, s10, v8
	v_lshl_add_u32 v6, v6, 1, v0
	v_ashrrev_i32_e32 v7, 31, v6
	v_lshl_add_u64 v[6:7], s[6:7], 0, v[6:7]
	v_cmp_le_i32_e64 s[0:1], s10, v0
	v_cmp_gt_i32_e64 s[2:3], s10, v0
	v_mov_b32_e32 v9, 0
	v_mov_b32_e32 v8, 0xff800000
	s_and_saveexec_b64 s[6:7], s[2:3]
	s_cbranch_execz .LBB1_5
; %bb.4:
	global_load_ushort v8, v[4:5], off
	global_load_ubyte v10, v[6:7], off
	v_mov_b32_e32 v11, 0xc61c4000
	s_waitcnt vmcnt(1)
	v_cvt_f32_f16_e32 v8, v8
	s_waitcnt vmcnt(0)
	v_cmp_ne_u16_e64 s[2:3], 1, v10
	v_mul_f32_e32 v8, s8, v8
	s_nop 0
	v_cndmask_b32_e64 v8, v11, v8, s[2:3]
.LBB1_5:
	s_or_b64 exec, exec, s[6:7]
	v_cmp_ne_u32_e64 s[2:3], 1, v1
	s_and_saveexec_b64 s[6:7], s[2:3]
	s_xor_b64 s[2:3], exec, s[6:7]
	s_cbranch_execz .LBB1_11
; %bb.6:
	s_and_saveexec_b64 s[6:7], s[0:1]
	s_xor_b64 s[0:1], exec, s[6:7]
; %bb.7:
                                        ; implicit-def: $vgpr6_vgpr7
                                        ; implicit-def: $vgpr4_vgpr5
; %bb.8:
	s_or_saveexec_b64 s[6:7], s[0:1]
	v_mov_b32_e32 v9, 0xff800000
	s_xor_b64 exec, exec, s[6:7]
	s_cbranch_execz .LBB1_10
; %bb.9:
	s_mov_b32 s11, 0
	v_lshl_add_u64 v[4:5], s[10:11], 1, v[4:5]
	global_load_ushort v9, v[4:5], off
	v_lshl_add_u64 v[4:5], v[6:7], 0, s[10:11]
	global_load_ubyte v4, v[4:5], off
	v_mov_b32_e32 v6, 0xc61c4000
	s_waitcnt vmcnt(1)
	v_cvt_f32_f16_e32 v5, v9
	s_waitcnt vmcnt(0)
	v_cmp_eq_u16_e64 s[0:1], 1, v4
	v_mul_f32_e32 v5, s8, v5
	s_nop 0
	v_cndmask_b32_e64 v9, v5, v6, s[0:1]
.LBB1_10:
	s_or_b64 exec, exec, s[6:7]
.LBB1_11:
	s_or_b64 exec, exec, s[2:3]
.LBB1_12:
	s_or_b64 exec, exec, s[4:5]
	v_mbcnt_lo_u32_b32 v4, -1, 0
	v_mbcnt_hi_u32_b32 v4, -1, v4
	v_and_b32_e32 v6, 0x7e, v4
	v_xor_b32_e32 v5, 1, v4
	v_add_u32_e32 v6, 2, v6
	v_cmp_lt_i32_e64 s[0:1], v5, v6
	s_mov_b32 s2, 0x3fb8aa3b
	s_mov_b32 s3, 0xc2ce8ed0
	v_cndmask_b32_e64 v4, v4, v5, s[0:1]
	v_lshlrev_b32_e32 v7, 2, v4
	ds_bpermute_b32 v4, v7, v8
	ds_bpermute_b32 v6, v7, v9
	s_mov_b32 s4, 0x42b17218
	s_waitcnt lgkmcnt(0)
	v_cmp_lt_f32_e64 s[0:1], v8, v4
	s_nop 1
	v_cndmask_b32_e64 v5, v8, v4, s[0:1]
	v_sub_f32_e32 v8, v8, v5
	v_mul_f32_e32 v4, 0x3fb8aa3b, v8
	v_fma_f32 v10, v8, s2, -v4
	v_rndne_f32_e32 v11, v4
	v_fmac_f32_e32 v10, 0x32a5705f, v8
	v_sub_f32_e32 v4, v4, v11
	v_add_f32_e32 v4, v4, v10
	v_exp_f32_e32 v10, v4
	v_cvt_i32_f32_e32 v11, v11
	v_cmp_lt_f32_e64 s[0:1], v9, v6
	s_nop 1
	v_cndmask_b32_e64 v4, v9, v6, s[0:1]
	v_sub_f32_e32 v9, v9, v4
	v_ldexp_f32 v6, v10, v11
	v_mul_f32_e32 v10, 0x3fb8aa3b, v9
	v_fma_f32 v11, v9, s2, -v10
	v_rndne_f32_e32 v12, v10
	v_fmac_f32_e32 v11, 0x32a5705f, v9
	v_sub_f32_e32 v10, v10, v12
	v_add_f32_e32 v10, v10, v11
	v_exp_f32_e32 v10, v10
	v_cvt_i32_f32_e32 v11, v12
	v_cmp_ngt_f32_e64 s[0:1], s3, v8
	v_mov_b32_e32 v12, 0x7f800000
	s_nop 0
	v_cndmask_b32_e64 v6, 0, v6, s[0:1]
	v_cmp_nlt_f32_e64 s[0:1], s4, v8
	s_nop 1
	v_cndmask_b32_e64 v8, v12, v6, s[0:1]
	v_ldexp_f32 v6, v10, v11
	v_cmp_ngt_f32_e64 s[0:1], s3, v9
	s_nop 1
	v_cndmask_b32_e64 v6, 0, v6, s[0:1]
	v_cmp_nlt_f32_e64 s[0:1], s4, v9
	ds_bpermute_b32 v9, v7, v8
	s_nop 0
	v_cndmask_b32_e64 v6, v12, v6, s[0:1]
	ds_bpermute_b32 v7, v7, v6
	s_and_saveexec_b64 s[0:1], vcc
	s_cbranch_execz .LBB1_17
; %bb.13:
	v_mov_b32_e32 v10, s12
	v_mov_b32_e32 v11, s13
	v_lshl_add_u64 v[2:3], v[2:3], 1, v[10:11]
	v_cmp_le_i32_e64 s[0:1], s10, v0
	v_cmp_gt_i32_e32 vcc, s10, v0
	s_and_saveexec_b64 s[2:3], vcc
	s_cbranch_execz .LBB1_15
; %bb.14:
	s_waitcnt lgkmcnt(1)
	v_add_f32_e32 v0, v8, v9
	v_div_scale_f32 v9, s[4:5], v0, v0, v8
	v_rcp_f32_e32 v10, v9
	v_div_scale_f32 v11, vcc, v8, v0, v8
	s_mov_b32 s4, 0xc61c4000
	v_fma_f32 v12, -v9, v10, 1.0
	v_fmac_f32_e32 v10, v12, v10
	v_mul_f32_e32 v12, v11, v10
	v_fma_f32 v13, -v9, v12, v11
	v_fmac_f32_e32 v12, v13, v10
	v_fma_f32 v9, -v9, v12, v11
	v_div_fmas_f32 v9, v9, v10, v12
	v_div_fixup_f32 v0, v9, v0, v8
	v_cvt_f16_f32_e32 v0, v0
	v_cmp_neq_f32_e32 vcc, s4, v5
	s_nop 1
	v_cndmask_b32_e32 v0, 0, v0, vcc
	global_store_short v[2:3], v0, off
.LBB1_15:
	s_or_b64 exec, exec, s[2:3]
	v_cmp_ne_u32_e32 vcc, 1, v1
	s_xor_b64 s[0:1], s[0:1], -1
	s_and_b64 s[0:1], vcc, s[0:1]
	s_and_saveexec_b64 s[2:3], s[0:1]
	s_xor_b64 s[2:3], exec, s[2:3]
	s_cbranch_execz .LBB1_17
; %bb.16:
	s_waitcnt lgkmcnt(0)
	v_add_f32_e32 v0, v6, v7
	v_div_scale_f32 v1, s[0:1], v0, v0, v6
	v_rcp_f32_e32 v5, v1
	s_mov_b32 s0, 0xc61c4000
	s_mov_b32 s11, 0
	v_fma_f32 v7, -v1, v5, 1.0
	v_fmac_f32_e32 v5, v7, v5
	v_div_scale_f32 v7, vcc, v6, v0, v6
	v_mul_f32_e32 v8, v7, v5
	v_fma_f32 v9, -v1, v8, v7
	v_fmac_f32_e32 v8, v9, v5
	v_fma_f32 v1, -v1, v8, v7
	v_div_fmas_f32 v1, v1, v5, v8
	v_div_fixup_f32 v0, v1, v0, v6
	v_cvt_f16_f32_e32 v5, v0
	v_cmp_neq_f32_e32 vcc, s0, v4
	v_lshl_add_u64 v[0:1], s[10:11], 1, v[2:3]
	s_nop 0
	v_cndmask_b32_e32 v2, 0, v5, vcc
	global_store_short v[0:1], v2, off
.LBB1_17:
	s_endpgm
	.section	.rodata,"a",@progbits
	.p2align	6, 0x0
	.amdhsa_kernel _Z34scaled_masked_softmax_warp_forwardI6__halfS0_fLi1EEvPT0_PKT_PKhT1_iii
		.amdhsa_group_segment_fixed_size 0
		.amdhsa_private_segment_fixed_size 0
		.amdhsa_kernarg_size 296
		.amdhsa_user_sgpr_count 2
		.amdhsa_user_sgpr_dispatch_ptr 0
		.amdhsa_user_sgpr_queue_ptr 0
		.amdhsa_user_sgpr_kernarg_segment_ptr 1
		.amdhsa_user_sgpr_dispatch_id 0
		.amdhsa_user_sgpr_kernarg_preload_length 0
		.amdhsa_user_sgpr_kernarg_preload_offset 0
		.amdhsa_user_sgpr_private_segment_size 0
		.amdhsa_uses_dynamic_stack 0
		.amdhsa_enable_private_segment 0
		.amdhsa_system_sgpr_workgroup_id_x 1
		.amdhsa_system_sgpr_workgroup_id_y 1
		.amdhsa_system_sgpr_workgroup_id_z 1
		.amdhsa_system_sgpr_workgroup_info 0
		.amdhsa_system_vgpr_workitem_id 1
		.amdhsa_next_free_vgpr 14
		.amdhsa_next_free_sgpr 18
		.amdhsa_accum_offset 16
		.amdhsa_reserve_vcc 1
		.amdhsa_float_round_mode_32 0
		.amdhsa_float_round_mode_16_64 0
		.amdhsa_float_denorm_mode_32 3
		.amdhsa_float_denorm_mode_16_64 3
		.amdhsa_dx10_clamp 1
		.amdhsa_ieee_mode 1
		.amdhsa_fp16_overflow 0
		.amdhsa_tg_split 0
		.amdhsa_exception_fp_ieee_invalid_op 0
		.amdhsa_exception_fp_denorm_src 0
		.amdhsa_exception_fp_ieee_div_zero 0
		.amdhsa_exception_fp_ieee_overflow 0
		.amdhsa_exception_fp_ieee_underflow 0
		.amdhsa_exception_fp_ieee_inexact 0
		.amdhsa_exception_int_div_zero 0
	.end_amdhsa_kernel
	.section	.text._Z34scaled_masked_softmax_warp_forwardI6__halfS0_fLi1EEvPT0_PKT_PKhT1_iii,"axG",@progbits,_Z34scaled_masked_softmax_warp_forwardI6__halfS0_fLi1EEvPT0_PKT_PKhT1_iii,comdat
.Lfunc_end1:
	.size	_Z34scaled_masked_softmax_warp_forwardI6__halfS0_fLi1EEvPT0_PKT_PKhT1_iii, .Lfunc_end1-_Z34scaled_masked_softmax_warp_forwardI6__halfS0_fLi1EEvPT0_PKT_PKhT1_iii
                                        ; -- End function
	.set _Z34scaled_masked_softmax_warp_forwardI6__halfS0_fLi1EEvPT0_PKT_PKhT1_iii.num_vgpr, 14
	.set _Z34scaled_masked_softmax_warp_forwardI6__halfS0_fLi1EEvPT0_PKT_PKhT1_iii.num_agpr, 0
	.set _Z34scaled_masked_softmax_warp_forwardI6__halfS0_fLi1EEvPT0_PKT_PKhT1_iii.numbered_sgpr, 18
	.set _Z34scaled_masked_softmax_warp_forwardI6__halfS0_fLi1EEvPT0_PKT_PKhT1_iii.num_named_barrier, 0
	.set _Z34scaled_masked_softmax_warp_forwardI6__halfS0_fLi1EEvPT0_PKT_PKhT1_iii.private_seg_size, 0
	.set _Z34scaled_masked_softmax_warp_forwardI6__halfS0_fLi1EEvPT0_PKT_PKhT1_iii.uses_vcc, 1
	.set _Z34scaled_masked_softmax_warp_forwardI6__halfS0_fLi1EEvPT0_PKT_PKhT1_iii.uses_flat_scratch, 0
	.set _Z34scaled_masked_softmax_warp_forwardI6__halfS0_fLi1EEvPT0_PKT_PKhT1_iii.has_dyn_sized_stack, 0
	.set _Z34scaled_masked_softmax_warp_forwardI6__halfS0_fLi1EEvPT0_PKT_PKhT1_iii.has_recursion, 0
	.set _Z34scaled_masked_softmax_warp_forwardI6__halfS0_fLi1EEvPT0_PKT_PKhT1_iii.has_indirect_call, 0
	.section	.AMDGPU.csdata,"",@progbits
; Kernel info:
; codeLenInByte = 1116
; TotalNumSgprs: 24
; NumVgprs: 14
; NumAgprs: 0
; TotalNumVgprs: 14
; ScratchSize: 0
; MemoryBound: 0
; FloatMode: 240
; IeeeMode: 1
; LDSByteSize: 0 bytes/workgroup (compile time only)
; SGPRBlocks: 2
; VGPRBlocks: 1
; NumSGPRsForWavesPerEU: 24
; NumVGPRsForWavesPerEU: 14
; AccumOffset: 16
; Occupancy: 8
; WaveLimiterHint : 0
; COMPUTE_PGM_RSRC2:SCRATCH_EN: 0
; COMPUTE_PGM_RSRC2:USER_SGPR: 2
; COMPUTE_PGM_RSRC2:TRAP_HANDLER: 0
; COMPUTE_PGM_RSRC2:TGID_X_EN: 1
; COMPUTE_PGM_RSRC2:TGID_Y_EN: 1
; COMPUTE_PGM_RSRC2:TGID_Z_EN: 1
; COMPUTE_PGM_RSRC2:TIDIG_COMP_CNT: 1
; COMPUTE_PGM_RSRC3_GFX90A:ACCUM_OFFSET: 3
; COMPUTE_PGM_RSRC3_GFX90A:TG_SPLIT: 0
	.section	.text._Z34scaled_masked_softmax_warp_forwardI6__halfS0_fLi2EEvPT0_PKT_PKhT1_iii,"axG",@progbits,_Z34scaled_masked_softmax_warp_forwardI6__halfS0_fLi2EEvPT0_PKT_PKhT1_iii,comdat
	.protected	_Z34scaled_masked_softmax_warp_forwardI6__halfS0_fLi2EEvPT0_PKT_PKhT1_iii ; -- Begin function _Z34scaled_masked_softmax_warp_forwardI6__halfS0_fLi2EEvPT0_PKT_PKhT1_iii
	.globl	_Z34scaled_masked_softmax_warp_forwardI6__halfS0_fLi2EEvPT0_PKT_PKhT1_iii
	.p2align	8
	.type	_Z34scaled_masked_softmax_warp_forwardI6__halfS0_fLi2EEvPT0_PKT_PKhT1_iii,@function
_Z34scaled_masked_softmax_warp_forwardI6__halfS0_fLi2EEvPT0_PKT_PKhT1_iii: ; @_Z34scaled_masked_softmax_warp_forwardI6__halfS0_fLi2EEvPT0_PKT_PKhT1_iii
; %bb.0:
	s_load_dword s5, s[0:1], 0x34
	s_load_dwordx4 s[8:11], s[0:1], 0x18
	s_load_dwordx2 s[16:17], s[0:1], 0x28
	s_waitcnt lgkmcnt(0)
	s_lshr_b32 s5, s5, 16
	s_cmp_eq_u32 s11, 1
	s_mov_b32 s11, s2
	s_cbranch_scc1 .LBB2_2
; %bb.1:
	s_mul_i32 s6, s16, s4
	s_add_i32 s11, s6, s2
.LBB2_2:
	s_load_dwordx4 s[12:15], s[0:1], 0x0
	s_load_dwordx2 s[6:7], s[0:1], 0x10
	s_mul_i32 s1, s17, s4
	s_add_i32 s1, s1, s3
	s_mul_i32 s1, s16, s1
	s_and_b32 s0, 0xffff, s5
	s_add_i32 s1, s1, s2
	s_mul_i32 s1, s1, s0
	v_bfe_u32 v4, v0, 10, 10
	v_add_lshl_u32 v2, s1, v4, 1
	v_sub_u32_e32 v1, s9, v2
	v_and_b32_e32 v0, 0x3ff, v0
	v_mad_u64_u32 v[2:3], s[2:3], v2, s10, v[0:1]
	v_ashrrev_i32_e32 v3, 31, v2
	v_cmp_lt_i32_e32 vcc, 0, v1
	v_mov_b32_e32 v9, 0
	v_mov_b32_e32 v8, 0
	s_and_saveexec_b64 s[4:5], vcc
	s_cbranch_execz .LBB2_12
; %bb.3:
	s_mul_i32 s0, s11, s0
	s_waitcnt lgkmcnt(0)
	v_mov_b32_e32 v6, s14
	v_mov_b32_e32 v7, s15
	v_add_u32_e32 v8, s0, v4
	v_lshl_add_u64 v[4:5], v[2:3], 1, v[6:7]
	v_mul_lo_u32 v6, s10, v8
	v_lshl_add_u32 v6, v6, 1, v0
	v_ashrrev_i32_e32 v7, 31, v6
	v_lshl_add_u64 v[6:7], s[6:7], 0, v[6:7]
	v_cmp_le_i32_e64 s[0:1], s10, v0
	v_cmp_gt_i32_e64 s[2:3], s10, v0
	v_mov_b32_e32 v9, 0
	v_mov_b32_e32 v8, 0xff800000
	s_and_saveexec_b64 s[6:7], s[2:3]
	s_cbranch_execz .LBB2_5
; %bb.4:
	global_load_ushort v8, v[4:5], off
	global_load_ubyte v10, v[6:7], off
	v_mov_b32_e32 v11, 0xc61c4000
	s_waitcnt vmcnt(1)
	v_cvt_f32_f16_e32 v8, v8
	s_waitcnt vmcnt(0)
	v_cmp_ne_u16_e64 s[2:3], 1, v10
	v_mul_f32_e32 v8, s8, v8
	s_nop 0
	v_cndmask_b32_e64 v8, v11, v8, s[2:3]
.LBB2_5:
	s_or_b64 exec, exec, s[6:7]
	v_cmp_ne_u32_e64 s[2:3], 1, v1
	s_and_saveexec_b64 s[6:7], s[2:3]
	s_xor_b64 s[2:3], exec, s[6:7]
	s_cbranch_execz .LBB2_11
; %bb.6:
	s_and_saveexec_b64 s[6:7], s[0:1]
	s_xor_b64 s[0:1], exec, s[6:7]
; %bb.7:
                                        ; implicit-def: $vgpr6_vgpr7
                                        ; implicit-def: $vgpr4_vgpr5
; %bb.8:
	s_or_saveexec_b64 s[6:7], s[0:1]
	v_mov_b32_e32 v9, 0xff800000
	s_xor_b64 exec, exec, s[6:7]
	s_cbranch_execz .LBB2_10
; %bb.9:
	s_mov_b32 s11, 0
	v_lshl_add_u64 v[4:5], s[10:11], 1, v[4:5]
	global_load_ushort v9, v[4:5], off
	v_lshl_add_u64 v[4:5], v[6:7], 0, s[10:11]
	global_load_ubyte v4, v[4:5], off
	v_mov_b32_e32 v6, 0xc61c4000
	s_waitcnt vmcnt(1)
	v_cvt_f32_f16_e32 v5, v9
	s_waitcnt vmcnt(0)
	v_cmp_eq_u16_e64 s[0:1], 1, v4
	v_mul_f32_e32 v5, s8, v5
	s_nop 0
	v_cndmask_b32_e64 v9, v5, v6, s[0:1]
.LBB2_10:
	s_or_b64 exec, exec, s[6:7]
.LBB2_11:
	s_or_b64 exec, exec, s[2:3]
.LBB2_12:
	s_or_b64 exec, exec, s[4:5]
	v_mbcnt_lo_u32_b32 v4, -1, 0
	v_mbcnt_hi_u32_b32 v4, -1, v4
	v_and_b32_e32 v5, 0x7c, v4
	v_add_u32_e32 v5, 4, v5
	v_xor_b32_e32 v6, 2, v4
	v_cmp_lt_i32_e64 s[0:1], v6, v5
	v_xor_b32_e32 v11, 1, v4
	s_mov_b32 s2, 0x3fb8aa3b
	v_cndmask_b32_e64 v6, v4, v6, s[0:1]
	v_lshlrev_b32_e32 v7, 2, v6
	ds_bpermute_b32 v6, v7, v8
	v_cmp_lt_i32_e64 s[0:1], v11, v5
	ds_bpermute_b32 v10, v7, v9
	s_mov_b32 s3, 0xc2ce8ed0
	v_cndmask_b32_e64 v4, v4, v11, s[0:1]
	s_waitcnt lgkmcnt(0)
	v_cmp_lt_f32_e64 s[0:1], v8, v6
	v_lshlrev_b32_e32 v12, 2, v4
	s_mov_b32 s4, 0x42b17218
	v_cndmask_b32_e64 v4, v8, v6, s[0:1]
	ds_bpermute_b32 v5, v12, v4
	v_cmp_lt_f32_e64 s[0:1], v9, v10
	v_mov_b32_e32 v14, 0x7f800000
	s_nop 0
	v_cndmask_b32_e64 v6, v9, v10, s[0:1]
	s_waitcnt lgkmcnt(0)
	v_cmp_lt_f32_e64 s[0:1], v4, v5
	ds_bpermute_b32 v10, v12, v6
	s_nop 0
	v_cndmask_b32_e64 v5, v4, v5, s[0:1]
	v_sub_f32_e32 v8, v8, v5
	v_mul_f32_e32 v4, 0x3fb8aa3b, v8
	v_fma_f32 v11, v8, s2, -v4
	v_rndne_f32_e32 v13, v4
	v_fmac_f32_e32 v11, 0x32a5705f, v8
	v_sub_f32_e32 v4, v4, v13
	v_add_f32_e32 v4, v4, v11
	v_exp_f32_e32 v11, v4
	v_cvt_i32_f32_e32 v13, v13
	s_waitcnt lgkmcnt(0)
	v_cmp_lt_f32_e64 s[0:1], v6, v10
	s_nop 1
	v_cndmask_b32_e64 v4, v6, v10, s[0:1]
	v_sub_f32_e32 v10, v9, v4
	v_mul_f32_e32 v9, 0x3fb8aa3b, v10
	v_ldexp_f32 v6, v11, v13
	v_fma_f32 v11, v10, s2, -v9
	v_rndne_f32_e32 v13, v9
	v_fmac_f32_e32 v11, 0x32a5705f, v10
	v_sub_f32_e32 v9, v9, v13
	v_add_f32_e32 v9, v9, v11
	v_exp_f32_e32 v11, v9
	v_cvt_i32_f32_e32 v13, v13
	v_cmp_ngt_f32_e64 s[0:1], s3, v8
	s_nop 1
	v_cndmask_b32_e64 v6, 0, v6, s[0:1]
	v_cmp_nlt_f32_e64 s[0:1], s4, v8
	s_nop 1
	v_cndmask_b32_e64 v9, v14, v6, s[0:1]
	v_ldexp_f32 v6, v11, v13
	v_cmp_ngt_f32_e64 s[0:1], s3, v10
	ds_bpermute_b32 v8, v7, v9
	s_nop 0
	v_cndmask_b32_e64 v6, 0, v6, s[0:1]
	v_cmp_nlt_f32_e64 s[0:1], s4, v10
	s_waitcnt lgkmcnt(0)
	v_add_f32_e32 v10, v9, v8
	v_cndmask_b32_e64 v6, v14, v6, s[0:1]
	ds_bpermute_b32 v7, v7, v6
	ds_bpermute_b32 v11, v12, v10
	s_waitcnt lgkmcnt(1)
	v_add_f32_e32 v7, v6, v7
	ds_bpermute_b32 v8, v12, v7
	s_and_saveexec_b64 s[0:1], vcc
	s_cbranch_execz .LBB2_17
; %bb.13:
	v_mov_b32_e32 v12, s12
	v_mov_b32_e32 v13, s13
	v_lshl_add_u64 v[2:3], v[2:3], 1, v[12:13]
	v_cmp_le_i32_e64 s[0:1], s10, v0
	v_cmp_gt_i32_e32 vcc, s10, v0
	s_and_saveexec_b64 s[2:3], vcc
	s_cbranch_execz .LBB2_15
; %bb.14:
	s_waitcnt lgkmcnt(1)
	v_add_f32_e32 v0, v10, v11
	v_div_scale_f32 v10, s[4:5], v0, v0, v9
	v_rcp_f32_e32 v11, v10
	v_div_scale_f32 v12, vcc, v9, v0, v9
	s_mov_b32 s4, 0xc61c4000
	v_fma_f32 v13, -v10, v11, 1.0
	v_fmac_f32_e32 v11, v13, v11
	v_mul_f32_e32 v13, v12, v11
	v_fma_f32 v14, -v10, v13, v12
	v_fmac_f32_e32 v13, v14, v11
	v_fma_f32 v10, -v10, v13, v12
	v_div_fmas_f32 v10, v10, v11, v13
	v_div_fixup_f32 v0, v10, v0, v9
	v_cvt_f16_f32_e32 v0, v0
	v_cmp_neq_f32_e32 vcc, s4, v5
	s_nop 1
	v_cndmask_b32_e32 v0, 0, v0, vcc
	global_store_short v[2:3], v0, off
.LBB2_15:
	s_or_b64 exec, exec, s[2:3]
	v_cmp_ne_u32_e32 vcc, 1, v1
	s_xor_b64 s[0:1], s[0:1], -1
	s_and_b64 s[0:1], vcc, s[0:1]
	s_and_saveexec_b64 s[2:3], s[0:1]
	s_xor_b64 s[2:3], exec, s[2:3]
	s_cbranch_execz .LBB2_17
; %bb.16:
	s_waitcnt lgkmcnt(0)
	v_add_f32_e32 v0, v7, v8
	v_div_scale_f32 v1, s[0:1], v0, v0, v6
	v_rcp_f32_e32 v5, v1
	s_mov_b32 s0, 0xc61c4000
	s_mov_b32 s11, 0
	v_fma_f32 v7, -v1, v5, 1.0
	v_fmac_f32_e32 v5, v7, v5
	v_div_scale_f32 v7, vcc, v6, v0, v6
	v_mul_f32_e32 v8, v7, v5
	v_fma_f32 v9, -v1, v8, v7
	v_fmac_f32_e32 v8, v9, v5
	v_fma_f32 v1, -v1, v8, v7
	v_div_fmas_f32 v1, v1, v5, v8
	v_div_fixup_f32 v0, v1, v0, v6
	v_cvt_f16_f32_e32 v5, v0
	v_cmp_neq_f32_e32 vcc, s0, v4
	v_lshl_add_u64 v[0:1], s[10:11], 1, v[2:3]
	s_nop 0
	v_cndmask_b32_e32 v2, 0, v5, vcc
	global_store_short v[0:1], v2, off
.LBB2_17:
	s_endpgm
	.section	.rodata,"a",@progbits
	.p2align	6, 0x0
	.amdhsa_kernel _Z34scaled_masked_softmax_warp_forwardI6__halfS0_fLi2EEvPT0_PKT_PKhT1_iii
		.amdhsa_group_segment_fixed_size 0
		.amdhsa_private_segment_fixed_size 0
		.amdhsa_kernarg_size 296
		.amdhsa_user_sgpr_count 2
		.amdhsa_user_sgpr_dispatch_ptr 0
		.amdhsa_user_sgpr_queue_ptr 0
		.amdhsa_user_sgpr_kernarg_segment_ptr 1
		.amdhsa_user_sgpr_dispatch_id 0
		.amdhsa_user_sgpr_kernarg_preload_length 0
		.amdhsa_user_sgpr_kernarg_preload_offset 0
		.amdhsa_user_sgpr_private_segment_size 0
		.amdhsa_uses_dynamic_stack 0
		.amdhsa_enable_private_segment 0
		.amdhsa_system_sgpr_workgroup_id_x 1
		.amdhsa_system_sgpr_workgroup_id_y 1
		.amdhsa_system_sgpr_workgroup_id_z 1
		.amdhsa_system_sgpr_workgroup_info 0
		.amdhsa_system_vgpr_workitem_id 1
		.amdhsa_next_free_vgpr 15
		.amdhsa_next_free_sgpr 18
		.amdhsa_accum_offset 16
		.amdhsa_reserve_vcc 1
		.amdhsa_float_round_mode_32 0
		.amdhsa_float_round_mode_16_64 0
		.amdhsa_float_denorm_mode_32 3
		.amdhsa_float_denorm_mode_16_64 3
		.amdhsa_dx10_clamp 1
		.amdhsa_ieee_mode 1
		.amdhsa_fp16_overflow 0
		.amdhsa_tg_split 0
		.amdhsa_exception_fp_ieee_invalid_op 0
		.amdhsa_exception_fp_denorm_src 0
		.amdhsa_exception_fp_ieee_div_zero 0
		.amdhsa_exception_fp_ieee_overflow 0
		.amdhsa_exception_fp_ieee_underflow 0
		.amdhsa_exception_fp_ieee_inexact 0
		.amdhsa_exception_int_div_zero 0
	.end_amdhsa_kernel
	.section	.text._Z34scaled_masked_softmax_warp_forwardI6__halfS0_fLi2EEvPT0_PKT_PKhT1_iii,"axG",@progbits,_Z34scaled_masked_softmax_warp_forwardI6__halfS0_fLi2EEvPT0_PKT_PKhT1_iii,comdat
.Lfunc_end2:
	.size	_Z34scaled_masked_softmax_warp_forwardI6__halfS0_fLi2EEvPT0_PKT_PKhT1_iii, .Lfunc_end2-_Z34scaled_masked_softmax_warp_forwardI6__halfS0_fLi2EEvPT0_PKT_PKhT1_iii
                                        ; -- End function
	.set _Z34scaled_masked_softmax_warp_forwardI6__halfS0_fLi2EEvPT0_PKT_PKhT1_iii.num_vgpr, 15
	.set _Z34scaled_masked_softmax_warp_forwardI6__halfS0_fLi2EEvPT0_PKT_PKhT1_iii.num_agpr, 0
	.set _Z34scaled_masked_softmax_warp_forwardI6__halfS0_fLi2EEvPT0_PKT_PKhT1_iii.numbered_sgpr, 18
	.set _Z34scaled_masked_softmax_warp_forwardI6__halfS0_fLi2EEvPT0_PKT_PKhT1_iii.num_named_barrier, 0
	.set _Z34scaled_masked_softmax_warp_forwardI6__halfS0_fLi2EEvPT0_PKT_PKhT1_iii.private_seg_size, 0
	.set _Z34scaled_masked_softmax_warp_forwardI6__halfS0_fLi2EEvPT0_PKT_PKhT1_iii.uses_vcc, 1
	.set _Z34scaled_masked_softmax_warp_forwardI6__halfS0_fLi2EEvPT0_PKT_PKhT1_iii.uses_flat_scratch, 0
	.set _Z34scaled_masked_softmax_warp_forwardI6__halfS0_fLi2EEvPT0_PKT_PKhT1_iii.has_dyn_sized_stack, 0
	.set _Z34scaled_masked_softmax_warp_forwardI6__halfS0_fLi2EEvPT0_PKT_PKhT1_iii.has_recursion, 0
	.set _Z34scaled_masked_softmax_warp_forwardI6__halfS0_fLi2EEvPT0_PKT_PKhT1_iii.has_indirect_call, 0
	.section	.AMDGPU.csdata,"",@progbits
; Kernel info:
; codeLenInByte = 1228
; TotalNumSgprs: 24
; NumVgprs: 15
; NumAgprs: 0
; TotalNumVgprs: 15
; ScratchSize: 0
; MemoryBound: 0
; FloatMode: 240
; IeeeMode: 1
; LDSByteSize: 0 bytes/workgroup (compile time only)
; SGPRBlocks: 2
; VGPRBlocks: 1
; NumSGPRsForWavesPerEU: 24
; NumVGPRsForWavesPerEU: 15
; AccumOffset: 16
; Occupancy: 8
; WaveLimiterHint : 0
; COMPUTE_PGM_RSRC2:SCRATCH_EN: 0
; COMPUTE_PGM_RSRC2:USER_SGPR: 2
; COMPUTE_PGM_RSRC2:TRAP_HANDLER: 0
; COMPUTE_PGM_RSRC2:TGID_X_EN: 1
; COMPUTE_PGM_RSRC2:TGID_Y_EN: 1
; COMPUTE_PGM_RSRC2:TGID_Z_EN: 1
; COMPUTE_PGM_RSRC2:TIDIG_COMP_CNT: 1
; COMPUTE_PGM_RSRC3_GFX90A:ACCUM_OFFSET: 3
; COMPUTE_PGM_RSRC3_GFX90A:TG_SPLIT: 0
	.section	.text._Z34scaled_masked_softmax_warp_forwardI6__halfS0_fLi3EEvPT0_PKT_PKhT1_iii,"axG",@progbits,_Z34scaled_masked_softmax_warp_forwardI6__halfS0_fLi3EEvPT0_PKT_PKhT1_iii,comdat
	.protected	_Z34scaled_masked_softmax_warp_forwardI6__halfS0_fLi3EEvPT0_PKT_PKhT1_iii ; -- Begin function _Z34scaled_masked_softmax_warp_forwardI6__halfS0_fLi3EEvPT0_PKT_PKhT1_iii
	.globl	_Z34scaled_masked_softmax_warp_forwardI6__halfS0_fLi3EEvPT0_PKT_PKhT1_iii
	.p2align	8
	.type	_Z34scaled_masked_softmax_warp_forwardI6__halfS0_fLi3EEvPT0_PKT_PKhT1_iii,@function
_Z34scaled_masked_softmax_warp_forwardI6__halfS0_fLi3EEvPT0_PKT_PKhT1_iii: ; @_Z34scaled_masked_softmax_warp_forwardI6__halfS0_fLi3EEvPT0_PKT_PKhT1_iii
; %bb.0:
	s_load_dword s5, s[0:1], 0x34
	s_load_dwordx4 s[8:11], s[0:1], 0x18
	s_load_dwordx2 s[16:17], s[0:1], 0x28
	s_waitcnt lgkmcnt(0)
	s_lshr_b32 s5, s5, 16
	s_cmp_eq_u32 s11, 1
	s_mov_b32 s11, s2
	s_cbranch_scc1 .LBB3_2
; %bb.1:
	s_mul_i32 s6, s16, s4
	s_add_i32 s11, s6, s2
.LBB3_2:
	s_load_dwordx4 s[12:15], s[0:1], 0x0
	s_load_dwordx2 s[6:7], s[0:1], 0x10
	s_mul_i32 s1, s17, s4
	s_add_i32 s1, s1, s3
	s_mul_i32 s1, s16, s1
	s_and_b32 s0, 0xffff, s5
	s_add_i32 s1, s1, s2
	s_mul_i32 s1, s1, s0
	v_bfe_u32 v4, v0, 10, 10
	v_add_lshl_u32 v2, s1, v4, 1
	v_sub_u32_e32 v1, s9, v2
	v_and_b32_e32 v0, 0x3ff, v0
	v_mad_u64_u32 v[2:3], s[2:3], v2, s10, v[0:1]
	v_ashrrev_i32_e32 v3, 31, v2
	v_cmp_lt_i32_e32 vcc, 0, v1
	v_mov_b32_e32 v9, 0
	v_mov_b32_e32 v8, 0
	s_and_saveexec_b64 s[4:5], vcc
	s_cbranch_execz .LBB3_12
; %bb.3:
	s_mul_i32 s0, s11, s0
	s_waitcnt lgkmcnt(0)
	v_mov_b32_e32 v6, s14
	v_mov_b32_e32 v7, s15
	v_add_u32_e32 v8, s0, v4
	v_lshl_add_u64 v[4:5], v[2:3], 1, v[6:7]
	v_mul_lo_u32 v6, s10, v8
	v_lshl_add_u32 v6, v6, 1, v0
	v_ashrrev_i32_e32 v7, 31, v6
	v_lshl_add_u64 v[6:7], s[6:7], 0, v[6:7]
	v_cmp_le_i32_e64 s[0:1], s10, v0
	v_cmp_gt_i32_e64 s[2:3], s10, v0
	v_mov_b32_e32 v9, 0
	v_mov_b32_e32 v8, 0xff800000
	s_and_saveexec_b64 s[6:7], s[2:3]
	s_cbranch_execz .LBB3_5
; %bb.4:
	global_load_ushort v8, v[4:5], off
	global_load_ubyte v10, v[6:7], off
	v_mov_b32_e32 v11, 0xc61c4000
	s_waitcnt vmcnt(1)
	v_cvt_f32_f16_e32 v8, v8
	s_waitcnt vmcnt(0)
	v_cmp_ne_u16_e64 s[2:3], 1, v10
	v_mul_f32_e32 v8, s8, v8
	s_nop 0
	v_cndmask_b32_e64 v8, v11, v8, s[2:3]
.LBB3_5:
	s_or_b64 exec, exec, s[6:7]
	v_cmp_ne_u32_e64 s[2:3], 1, v1
	s_and_saveexec_b64 s[6:7], s[2:3]
	s_xor_b64 s[2:3], exec, s[6:7]
	s_cbranch_execz .LBB3_11
; %bb.6:
	s_and_saveexec_b64 s[6:7], s[0:1]
	s_xor_b64 s[0:1], exec, s[6:7]
; %bb.7:
                                        ; implicit-def: $vgpr6_vgpr7
                                        ; implicit-def: $vgpr4_vgpr5
; %bb.8:
	s_or_saveexec_b64 s[6:7], s[0:1]
	v_mov_b32_e32 v9, 0xff800000
	s_xor_b64 exec, exec, s[6:7]
	s_cbranch_execz .LBB3_10
; %bb.9:
	s_mov_b32 s11, 0
	v_lshl_add_u64 v[4:5], s[10:11], 1, v[4:5]
	global_load_ushort v9, v[4:5], off
	v_lshl_add_u64 v[4:5], v[6:7], 0, s[10:11]
	global_load_ubyte v4, v[4:5], off
	v_mov_b32_e32 v6, 0xc61c4000
	s_waitcnt vmcnt(1)
	v_cvt_f32_f16_e32 v5, v9
	s_waitcnt vmcnt(0)
	v_cmp_eq_u16_e64 s[0:1], 1, v4
	v_mul_f32_e32 v5, s8, v5
	s_nop 0
	v_cndmask_b32_e64 v9, v5, v6, s[0:1]
.LBB3_10:
	s_or_b64 exec, exec, s[6:7]
.LBB3_11:
	s_or_b64 exec, exec, s[2:3]
.LBB3_12:
	s_or_b64 exec, exec, s[4:5]
	v_mbcnt_lo_u32_b32 v4, -1, 0
	v_mbcnt_hi_u32_b32 v4, -1, v4
	v_and_b32_e32 v5, 0x78, v4
	v_add_u32_e32 v5, 8, v5
	v_xor_b32_e32 v6, 4, v4
	v_cmp_lt_i32_e64 s[0:1], v6, v5
	v_xor_b32_e32 v11, 2, v4
	v_xor_b32_e32 v12, 1, v4
	v_cndmask_b32_e64 v6, v4, v6, s[0:1]
	v_lshlrev_b32_e32 v7, 2, v6
	ds_bpermute_b32 v6, v7, v8
	v_cmp_lt_i32_e64 s[0:1], v11, v5
	ds_bpermute_b32 v10, v7, v9
	s_mov_b32 s2, 0x3fb8aa3b
	v_cndmask_b32_e64 v11, v4, v11, s[0:1]
	v_cmp_lt_i32_e64 s[0:1], v12, v5
	v_lshlrev_b32_e32 v11, 2, v11
	s_mov_b32 s3, 0xc2ce8ed0
	v_cndmask_b32_e64 v4, v4, v12, s[0:1]
	s_waitcnt lgkmcnt(0)
	v_cmp_lt_f32_e64 s[0:1], v8, v6
	v_lshlrev_b32_e32 v12, 2, v4
	s_mov_b32 s4, 0x42b17218
	v_cndmask_b32_e64 v5, v8, v6, s[0:1]
	ds_bpermute_b32 v6, v11, v5
	v_cmp_lt_f32_e64 s[0:1], v9, v10
	v_mov_b32_e32 v15, 0x7f800000
	s_nop 0
	v_cndmask_b32_e64 v4, v9, v10, s[0:1]
	s_waitcnt lgkmcnt(0)
	v_cmp_lt_f32_e64 s[0:1], v5, v6
	ds_bpermute_b32 v10, v11, v4
	s_nop 0
	v_cndmask_b32_e64 v5, v5, v6, s[0:1]
	ds_bpermute_b32 v6, v12, v5
	s_waitcnt lgkmcnt(1)
	v_cmp_lt_f32_e64 s[0:1], v4, v10
	s_nop 1
	v_cndmask_b32_e64 v4, v4, v10, s[0:1]
	s_waitcnt lgkmcnt(0)
	v_cmp_lt_f32_e64 s[0:1], v5, v6
	ds_bpermute_b32 v10, v12, v4
	s_nop 0
	v_cndmask_b32_e64 v5, v5, v6, s[0:1]
	v_sub_f32_e32 v6, v8, v5
	v_mul_f32_e32 v8, 0x3fb8aa3b, v6
	v_fma_f32 v13, v6, s2, -v8
	v_rndne_f32_e32 v14, v8
	v_fmac_f32_e32 v13, 0x32a5705f, v6
	v_sub_f32_e32 v8, v8, v14
	v_add_f32_e32 v8, v8, v13
	v_exp_f32_e32 v8, v8
	v_cvt_i32_f32_e32 v13, v14
	s_waitcnt lgkmcnt(0)
	v_cmp_lt_f32_e64 s[0:1], v4, v10
	v_ldexp_f32 v8, v8, v13
	s_nop 0
	v_cndmask_b32_e64 v4, v4, v10, s[0:1]
	v_sub_f32_e32 v10, v9, v4
	v_mul_f32_e32 v9, 0x3fb8aa3b, v10
	v_fma_f32 v13, v10, s2, -v9
	v_rndne_f32_e32 v14, v9
	v_fmac_f32_e32 v13, 0x32a5705f, v10
	v_sub_f32_e32 v9, v9, v14
	v_add_f32_e32 v9, v9, v13
	v_exp_f32_e32 v13, v9
	v_cvt_i32_f32_e32 v14, v14
	v_cmp_ngt_f32_e64 s[0:1], s3, v6
	s_nop 1
	v_cndmask_b32_e64 v8, 0, v8, s[0:1]
	v_cmp_nlt_f32_e64 s[0:1], s4, v6
	v_ldexp_f32 v6, v13, v14
	s_nop 0
	v_cndmask_b32_e64 v9, v15, v8, s[0:1]
	v_cmp_ngt_f32_e64 s[0:1], s3, v10
	ds_bpermute_b32 v8, v7, v9
	s_waitcnt lgkmcnt(0)
	v_add_f32_e32 v8, v9, v8
	v_cndmask_b32_e64 v6, 0, v6, s[0:1]
	v_cmp_nlt_f32_e64 s[0:1], s4, v10
	ds_bpermute_b32 v10, v11, v8
	s_waitcnt lgkmcnt(0)
	v_add_f32_e32 v10, v8, v10
	v_cndmask_b32_e64 v6, v15, v6, s[0:1]
	ds_bpermute_b32 v7, v7, v6
	s_waitcnt lgkmcnt(0)
	v_add_f32_e32 v7, v6, v7
	ds_bpermute_b32 v11, v11, v7
	s_waitcnt lgkmcnt(0)
	v_add_f32_e32 v7, v7, v11
	ds_bpermute_b32 v11, v12, v10
	ds_bpermute_b32 v8, v12, v7
	s_and_saveexec_b64 s[0:1], vcc
	s_cbranch_execz .LBB3_17
; %bb.13:
	v_mov_b32_e32 v12, s12
	v_mov_b32_e32 v13, s13
	v_lshl_add_u64 v[2:3], v[2:3], 1, v[12:13]
	v_cmp_le_i32_e64 s[0:1], s10, v0
	v_cmp_gt_i32_e32 vcc, s10, v0
	s_and_saveexec_b64 s[2:3], vcc
	s_cbranch_execz .LBB3_15
; %bb.14:
	s_waitcnt lgkmcnt(1)
	v_add_f32_e32 v0, v10, v11
	v_div_scale_f32 v10, s[4:5], v0, v0, v9
	v_rcp_f32_e32 v11, v10
	v_div_scale_f32 v12, vcc, v9, v0, v9
	s_mov_b32 s4, 0xc61c4000
	v_fma_f32 v13, -v10, v11, 1.0
	v_fmac_f32_e32 v11, v13, v11
	v_mul_f32_e32 v13, v12, v11
	v_fma_f32 v14, -v10, v13, v12
	v_fmac_f32_e32 v13, v14, v11
	v_fma_f32 v10, -v10, v13, v12
	v_div_fmas_f32 v10, v10, v11, v13
	v_div_fixup_f32 v0, v10, v0, v9
	v_cvt_f16_f32_e32 v0, v0
	v_cmp_neq_f32_e32 vcc, s4, v5
	s_nop 1
	v_cndmask_b32_e32 v0, 0, v0, vcc
	global_store_short v[2:3], v0, off
.LBB3_15:
	s_or_b64 exec, exec, s[2:3]
	v_cmp_ne_u32_e32 vcc, 1, v1
	s_xor_b64 s[0:1], s[0:1], -1
	s_and_b64 s[0:1], vcc, s[0:1]
	s_and_saveexec_b64 s[2:3], s[0:1]
	s_xor_b64 s[2:3], exec, s[2:3]
	s_cbranch_execz .LBB3_17
; %bb.16:
	s_waitcnt lgkmcnt(0)
	v_add_f32_e32 v0, v7, v8
	v_div_scale_f32 v1, s[0:1], v0, v0, v6
	v_rcp_f32_e32 v5, v1
	s_mov_b32 s0, 0xc61c4000
	s_mov_b32 s11, 0
	v_fma_f32 v7, -v1, v5, 1.0
	v_fmac_f32_e32 v5, v7, v5
	v_div_scale_f32 v7, vcc, v6, v0, v6
	v_mul_f32_e32 v8, v7, v5
	v_fma_f32 v9, -v1, v8, v7
	v_fmac_f32_e32 v8, v9, v5
	v_fma_f32 v1, -v1, v8, v7
	v_div_fmas_f32 v1, v1, v5, v8
	v_div_fixup_f32 v0, v1, v0, v6
	v_cvt_f16_f32_e32 v5, v0
	v_cmp_neq_f32_e32 vcc, s0, v4
	v_lshl_add_u64 v[0:1], s[10:11], 1, v[2:3]
	s_nop 0
	v_cndmask_b32_e32 v2, 0, v5, vcc
	global_store_short v[0:1], v2, off
.LBB3_17:
	s_endpgm
	.section	.rodata,"a",@progbits
	.p2align	6, 0x0
	.amdhsa_kernel _Z34scaled_masked_softmax_warp_forwardI6__halfS0_fLi3EEvPT0_PKT_PKhT1_iii
		.amdhsa_group_segment_fixed_size 0
		.amdhsa_private_segment_fixed_size 0
		.amdhsa_kernarg_size 296
		.amdhsa_user_sgpr_count 2
		.amdhsa_user_sgpr_dispatch_ptr 0
		.amdhsa_user_sgpr_queue_ptr 0
		.amdhsa_user_sgpr_kernarg_segment_ptr 1
		.amdhsa_user_sgpr_dispatch_id 0
		.amdhsa_user_sgpr_kernarg_preload_length 0
		.amdhsa_user_sgpr_kernarg_preload_offset 0
		.amdhsa_user_sgpr_private_segment_size 0
		.amdhsa_uses_dynamic_stack 0
		.amdhsa_enable_private_segment 0
		.amdhsa_system_sgpr_workgroup_id_x 1
		.amdhsa_system_sgpr_workgroup_id_y 1
		.amdhsa_system_sgpr_workgroup_id_z 1
		.amdhsa_system_sgpr_workgroup_info 0
		.amdhsa_system_vgpr_workitem_id 1
		.amdhsa_next_free_vgpr 16
		.amdhsa_next_free_sgpr 18
		.amdhsa_accum_offset 16
		.amdhsa_reserve_vcc 1
		.amdhsa_float_round_mode_32 0
		.amdhsa_float_round_mode_16_64 0
		.amdhsa_float_denorm_mode_32 3
		.amdhsa_float_denorm_mode_16_64 3
		.amdhsa_dx10_clamp 1
		.amdhsa_ieee_mode 1
		.amdhsa_fp16_overflow 0
		.amdhsa_tg_split 0
		.amdhsa_exception_fp_ieee_invalid_op 0
		.amdhsa_exception_fp_denorm_src 0
		.amdhsa_exception_fp_ieee_div_zero 0
		.amdhsa_exception_fp_ieee_overflow 0
		.amdhsa_exception_fp_ieee_underflow 0
		.amdhsa_exception_fp_ieee_inexact 0
		.amdhsa_exception_int_div_zero 0
	.end_amdhsa_kernel
	.section	.text._Z34scaled_masked_softmax_warp_forwardI6__halfS0_fLi3EEvPT0_PKT_PKhT1_iii,"axG",@progbits,_Z34scaled_masked_softmax_warp_forwardI6__halfS0_fLi3EEvPT0_PKT_PKhT1_iii,comdat
.Lfunc_end3:
	.size	_Z34scaled_masked_softmax_warp_forwardI6__halfS0_fLi3EEvPT0_PKT_PKhT1_iii, .Lfunc_end3-_Z34scaled_masked_softmax_warp_forwardI6__halfS0_fLi3EEvPT0_PKT_PKhT1_iii
                                        ; -- End function
	.set _Z34scaled_masked_softmax_warp_forwardI6__halfS0_fLi3EEvPT0_PKT_PKhT1_iii.num_vgpr, 16
	.set _Z34scaled_masked_softmax_warp_forwardI6__halfS0_fLi3EEvPT0_PKT_PKhT1_iii.num_agpr, 0
	.set _Z34scaled_masked_softmax_warp_forwardI6__halfS0_fLi3EEvPT0_PKT_PKhT1_iii.numbered_sgpr, 18
	.set _Z34scaled_masked_softmax_warp_forwardI6__halfS0_fLi3EEvPT0_PKT_PKhT1_iii.num_named_barrier, 0
	.set _Z34scaled_masked_softmax_warp_forwardI6__halfS0_fLi3EEvPT0_PKT_PKhT1_iii.private_seg_size, 0
	.set _Z34scaled_masked_softmax_warp_forwardI6__halfS0_fLi3EEvPT0_PKT_PKhT1_iii.uses_vcc, 1
	.set _Z34scaled_masked_softmax_warp_forwardI6__halfS0_fLi3EEvPT0_PKT_PKhT1_iii.uses_flat_scratch, 0
	.set _Z34scaled_masked_softmax_warp_forwardI6__halfS0_fLi3EEvPT0_PKT_PKhT1_iii.has_dyn_sized_stack, 0
	.set _Z34scaled_masked_softmax_warp_forwardI6__halfS0_fLi3EEvPT0_PKT_PKhT1_iii.has_recursion, 0
	.set _Z34scaled_masked_softmax_warp_forwardI6__halfS0_fLi3EEvPT0_PKT_PKhT1_iii.has_indirect_call, 0
	.section	.AMDGPU.csdata,"",@progbits
; Kernel info:
; codeLenInByte = 1344
; TotalNumSgprs: 24
; NumVgprs: 16
; NumAgprs: 0
; TotalNumVgprs: 16
; ScratchSize: 0
; MemoryBound: 0
; FloatMode: 240
; IeeeMode: 1
; LDSByteSize: 0 bytes/workgroup (compile time only)
; SGPRBlocks: 2
; VGPRBlocks: 1
; NumSGPRsForWavesPerEU: 24
; NumVGPRsForWavesPerEU: 16
; AccumOffset: 16
; Occupancy: 8
; WaveLimiterHint : 0
; COMPUTE_PGM_RSRC2:SCRATCH_EN: 0
; COMPUTE_PGM_RSRC2:USER_SGPR: 2
; COMPUTE_PGM_RSRC2:TRAP_HANDLER: 0
; COMPUTE_PGM_RSRC2:TGID_X_EN: 1
; COMPUTE_PGM_RSRC2:TGID_Y_EN: 1
; COMPUTE_PGM_RSRC2:TGID_Z_EN: 1
; COMPUTE_PGM_RSRC2:TIDIG_COMP_CNT: 1
; COMPUTE_PGM_RSRC3_GFX90A:ACCUM_OFFSET: 3
; COMPUTE_PGM_RSRC3_GFX90A:TG_SPLIT: 0
	.section	.text._Z34scaled_masked_softmax_warp_forwardI6__halfS0_fLi4EEvPT0_PKT_PKhT1_iii,"axG",@progbits,_Z34scaled_masked_softmax_warp_forwardI6__halfS0_fLi4EEvPT0_PKT_PKhT1_iii,comdat
	.protected	_Z34scaled_masked_softmax_warp_forwardI6__halfS0_fLi4EEvPT0_PKT_PKhT1_iii ; -- Begin function _Z34scaled_masked_softmax_warp_forwardI6__halfS0_fLi4EEvPT0_PKT_PKhT1_iii
	.globl	_Z34scaled_masked_softmax_warp_forwardI6__halfS0_fLi4EEvPT0_PKT_PKhT1_iii
	.p2align	8
	.type	_Z34scaled_masked_softmax_warp_forwardI6__halfS0_fLi4EEvPT0_PKT_PKhT1_iii,@function
_Z34scaled_masked_softmax_warp_forwardI6__halfS0_fLi4EEvPT0_PKT_PKhT1_iii: ; @_Z34scaled_masked_softmax_warp_forwardI6__halfS0_fLi4EEvPT0_PKT_PKhT1_iii
; %bb.0:
	s_load_dword s5, s[0:1], 0x34
	s_load_dwordx4 s[8:11], s[0:1], 0x18
	s_load_dwordx2 s[16:17], s[0:1], 0x28
	s_waitcnt lgkmcnt(0)
	s_lshr_b32 s5, s5, 16
	s_cmp_eq_u32 s11, 1
	s_mov_b32 s11, s2
	s_cbranch_scc1 .LBB4_2
; %bb.1:
	s_mul_i32 s6, s16, s4
	s_add_i32 s11, s6, s2
.LBB4_2:
	s_load_dwordx4 s[12:15], s[0:1], 0x0
	s_load_dwordx2 s[6:7], s[0:1], 0x10
	s_mul_i32 s1, s17, s4
	s_add_i32 s1, s1, s3
	s_mul_i32 s1, s16, s1
	s_and_b32 s0, 0xffff, s5
	s_add_i32 s1, s1, s2
	s_mul_i32 s1, s1, s0
	v_bfe_u32 v4, v0, 10, 10
	v_add_lshl_u32 v2, s1, v4, 1
	v_sub_u32_e32 v1, s9, v2
	v_and_b32_e32 v0, 0x3ff, v0
	v_mad_u64_u32 v[2:3], s[2:3], v2, s10, v[0:1]
	v_ashrrev_i32_e32 v3, 31, v2
	v_cmp_lt_i32_e32 vcc, 0, v1
	v_mov_b32_e32 v9, 0
	v_mov_b32_e32 v8, 0
	s_and_saveexec_b64 s[4:5], vcc
	s_cbranch_execz .LBB4_12
; %bb.3:
	s_mul_i32 s0, s11, s0
	s_waitcnt lgkmcnt(0)
	v_mov_b32_e32 v6, s14
	v_mov_b32_e32 v7, s15
	v_add_u32_e32 v8, s0, v4
	v_lshl_add_u64 v[4:5], v[2:3], 1, v[6:7]
	v_mul_lo_u32 v6, s10, v8
	v_lshl_add_u32 v6, v6, 1, v0
	v_ashrrev_i32_e32 v7, 31, v6
	v_lshl_add_u64 v[6:7], s[6:7], 0, v[6:7]
	v_cmp_le_i32_e64 s[0:1], s10, v0
	v_cmp_gt_i32_e64 s[2:3], s10, v0
	v_mov_b32_e32 v9, 0
	v_mov_b32_e32 v8, 0xff800000
	s_and_saveexec_b64 s[6:7], s[2:3]
	s_cbranch_execz .LBB4_5
; %bb.4:
	global_load_ushort v8, v[4:5], off
	global_load_ubyte v10, v[6:7], off
	v_mov_b32_e32 v11, 0xc61c4000
	s_waitcnt vmcnt(1)
	v_cvt_f32_f16_e32 v8, v8
	s_waitcnt vmcnt(0)
	v_cmp_ne_u16_e64 s[2:3], 1, v10
	v_mul_f32_e32 v8, s8, v8
	s_nop 0
	v_cndmask_b32_e64 v8, v11, v8, s[2:3]
.LBB4_5:
	s_or_b64 exec, exec, s[6:7]
	v_cmp_ne_u32_e64 s[2:3], 1, v1
	s_and_saveexec_b64 s[6:7], s[2:3]
	s_xor_b64 s[2:3], exec, s[6:7]
	s_cbranch_execz .LBB4_11
; %bb.6:
	s_and_saveexec_b64 s[6:7], s[0:1]
	s_xor_b64 s[0:1], exec, s[6:7]
; %bb.7:
                                        ; implicit-def: $vgpr6_vgpr7
                                        ; implicit-def: $vgpr4_vgpr5
; %bb.8:
	s_or_saveexec_b64 s[6:7], s[0:1]
	v_mov_b32_e32 v9, 0xff800000
	s_xor_b64 exec, exec, s[6:7]
	s_cbranch_execz .LBB4_10
; %bb.9:
	s_mov_b32 s11, 0
	v_lshl_add_u64 v[4:5], s[10:11], 1, v[4:5]
	global_load_ushort v9, v[4:5], off
	v_lshl_add_u64 v[4:5], v[6:7], 0, s[10:11]
	global_load_ubyte v4, v[4:5], off
	v_mov_b32_e32 v6, 0xc61c4000
	s_waitcnt vmcnt(1)
	v_cvt_f32_f16_e32 v5, v9
	s_waitcnt vmcnt(0)
	v_cmp_eq_u16_e64 s[0:1], 1, v4
	v_mul_f32_e32 v5, s8, v5
	s_nop 0
	v_cndmask_b32_e64 v9, v5, v6, s[0:1]
.LBB4_10:
	s_or_b64 exec, exec, s[6:7]
.LBB4_11:
	s_or_b64 exec, exec, s[2:3]
.LBB4_12:
	s_or_b64 exec, exec, s[4:5]
	v_mbcnt_lo_u32_b32 v4, -1, 0
	v_mbcnt_hi_u32_b32 v4, -1, v4
	v_and_b32_e32 v5, 0x70, v4
	v_add_u32_e32 v5, 16, v5
	v_xor_b32_e32 v6, 8, v4
	v_cmp_lt_i32_e64 s[0:1], v6, v5
	v_xor_b32_e32 v11, 4, v4
	v_xor_b32_e32 v12, 2, v4
	v_cndmask_b32_e64 v6, v4, v6, s[0:1]
	v_lshlrev_b32_e32 v7, 2, v6
	ds_bpermute_b32 v6, v7, v8
	v_cmp_lt_i32_e64 s[0:1], v11, v5
	ds_bpermute_b32 v10, v7, v9
	v_xor_b32_e32 v13, 1, v4
	v_cndmask_b32_e64 v11, v4, v11, s[0:1]
	v_cmp_lt_i32_e64 s[0:1], v12, v5
	v_lshlrev_b32_e32 v11, 2, v11
	s_mov_b32 s2, 0x3fb8aa3b
	v_cndmask_b32_e64 v12, v4, v12, s[0:1]
	s_waitcnt lgkmcnt(0)
	v_cmp_lt_f32_e64 s[0:1], v8, v6
	v_lshlrev_b32_e32 v12, 2, v12
	s_mov_b32 s3, 0xc2ce8ed0
	v_cndmask_b32_e64 v6, v8, v6, s[0:1]
	ds_bpermute_b32 v14, v11, v6
	v_cmp_lt_i32_e64 s[0:1], v13, v5
	s_mov_b32 s4, 0x42b17218
	s_nop 0
	v_cndmask_b32_e64 v4, v4, v13, s[0:1]
	v_cmp_lt_f32_e64 s[0:1], v9, v10
	s_nop 1
	v_cndmask_b32_e64 v5, v9, v10, s[0:1]
	s_waitcnt lgkmcnt(0)
	v_cmp_lt_f32_e64 s[0:1], v6, v14
	ds_bpermute_b32 v10, v11, v5
	s_nop 0
	v_cndmask_b32_e64 v6, v6, v14, s[0:1]
	ds_bpermute_b32 v13, v12, v6
	v_lshlrev_b32_e32 v14, 2, v4
	s_waitcnt lgkmcnt(1)
	v_cmp_lt_f32_e64 s[0:1], v5, v10
	s_nop 1
	v_cndmask_b32_e64 v4, v5, v10, s[0:1]
	s_waitcnt lgkmcnt(0)
	v_cmp_lt_f32_e64 s[0:1], v6, v13
	ds_bpermute_b32 v5, v12, v4
	s_nop 0
	v_cndmask_b32_e64 v6, v6, v13, s[0:1]
	ds_bpermute_b32 v10, v14, v6
	s_waitcnt lgkmcnt(1)
	v_cmp_lt_f32_e64 s[0:1], v4, v5
	s_nop 1
	v_cndmask_b32_e64 v4, v4, v5, s[0:1]
	s_waitcnt lgkmcnt(0)
	v_cmp_lt_f32_e64 s[0:1], v6, v10
	ds_bpermute_b32 v13, v14, v4
	s_nop 0
	v_cndmask_b32_e64 v5, v6, v10, s[0:1]
	v_sub_f32_e32 v6, v8, v5
	v_mul_f32_e32 v8, 0x3fb8aa3b, v6
	v_fma_f32 v10, v6, s2, -v8
	v_rndne_f32_e32 v15, v8
	v_fmac_f32_e32 v10, 0x32a5705f, v6
	v_sub_f32_e32 v8, v8, v15
	v_add_f32_e32 v8, v8, v10
	v_exp_f32_e32 v8, v8
	v_cvt_i32_f32_e32 v10, v15
	s_waitcnt lgkmcnt(0)
	v_cmp_lt_f32_e64 s[0:1], v4, v13
	v_ldexp_f32 v8, v8, v10
	s_nop 0
	v_cndmask_b32_e64 v4, v4, v13, s[0:1]
	v_sub_f32_e32 v9, v9, v4
	v_mul_f32_e32 v10, 0x3fb8aa3b, v9
	v_fma_f32 v13, v9, s2, -v10
	v_rndne_f32_e32 v15, v10
	v_fmac_f32_e32 v13, 0x32a5705f, v9
	v_sub_f32_e32 v10, v10, v15
	v_add_f32_e32 v10, v10, v13
	v_exp_f32_e32 v10, v10
	v_cvt_i32_f32_e32 v13, v15
	v_cmp_ngt_f32_e64 s[0:1], s3, v6
	v_mov_b32_e32 v15, 0x7f800000
	s_nop 0
	v_cndmask_b32_e64 v8, 0, v8, s[0:1]
	v_cmp_nlt_f32_e64 s[0:1], s4, v6
	v_ldexp_f32 v6, v10, v13
	s_nop 0
	v_cndmask_b32_e64 v8, v15, v8, s[0:1]
	v_cmp_ngt_f32_e64 s[0:1], s3, v9
	s_nop 1
	v_cndmask_b32_e64 v6, 0, v6, s[0:1]
	v_cmp_nlt_f32_e64 s[0:1], s4, v9
	ds_bpermute_b32 v9, v7, v8
	s_waitcnt lgkmcnt(0)
	v_add_f32_e32 v9, v8, v9
	v_cndmask_b32_e64 v6, v15, v6, s[0:1]
	ds_bpermute_b32 v7, v7, v6
	ds_bpermute_b32 v10, v11, v9
	s_waitcnt lgkmcnt(1)
	v_add_f32_e32 v7, v6, v7
	ds_bpermute_b32 v11, v11, v7
	s_waitcnt lgkmcnt(1)
	v_add_f32_e32 v9, v9, v10
	;; [unrolled: 3-line block ×4, first 2 shown]
	s_waitcnt lgkmcnt(0)
	v_add_f32_e32 v7, v7, v11
	ds_bpermute_b32 v11, v14, v10
	ds_bpermute_b32 v9, v14, v7
	s_and_saveexec_b64 s[0:1], vcc
	s_cbranch_execz .LBB4_17
; %bb.13:
	v_mov_b32_e32 v12, s12
	v_mov_b32_e32 v13, s13
	v_lshl_add_u64 v[2:3], v[2:3], 1, v[12:13]
	v_cmp_le_i32_e64 s[0:1], s10, v0
	v_cmp_gt_i32_e32 vcc, s10, v0
	s_and_saveexec_b64 s[2:3], vcc
	s_cbranch_execz .LBB4_15
; %bb.14:
	s_waitcnt lgkmcnt(1)
	v_add_f32_e32 v0, v10, v11
	v_div_scale_f32 v10, s[4:5], v0, v0, v8
	v_rcp_f32_e32 v11, v10
	v_div_scale_f32 v12, vcc, v8, v0, v8
	s_mov_b32 s4, 0xc61c4000
	v_fma_f32 v13, -v10, v11, 1.0
	v_fmac_f32_e32 v11, v13, v11
	v_mul_f32_e32 v13, v12, v11
	v_fma_f32 v14, -v10, v13, v12
	v_fmac_f32_e32 v13, v14, v11
	v_fma_f32 v10, -v10, v13, v12
	v_div_fmas_f32 v10, v10, v11, v13
	v_div_fixup_f32 v0, v10, v0, v8
	v_cvt_f16_f32_e32 v0, v0
	v_cmp_neq_f32_e32 vcc, s4, v5
	s_nop 1
	v_cndmask_b32_e32 v0, 0, v0, vcc
	global_store_short v[2:3], v0, off
.LBB4_15:
	s_or_b64 exec, exec, s[2:3]
	v_cmp_ne_u32_e32 vcc, 1, v1
	s_xor_b64 s[0:1], s[0:1], -1
	s_and_b64 s[0:1], vcc, s[0:1]
	s_and_saveexec_b64 s[2:3], s[0:1]
	s_xor_b64 s[2:3], exec, s[2:3]
	s_cbranch_execz .LBB4_17
; %bb.16:
	s_waitcnt lgkmcnt(0)
	v_add_f32_e32 v0, v7, v9
	v_div_scale_f32 v1, s[0:1], v0, v0, v6
	v_rcp_f32_e32 v5, v1
	s_mov_b32 s0, 0xc61c4000
	s_mov_b32 s11, 0
	v_fma_f32 v7, -v1, v5, 1.0
	v_fmac_f32_e32 v5, v7, v5
	v_div_scale_f32 v7, vcc, v6, v0, v6
	v_mul_f32_e32 v8, v7, v5
	v_fma_f32 v9, -v1, v8, v7
	v_fmac_f32_e32 v8, v9, v5
	v_fma_f32 v1, -v1, v8, v7
	v_div_fmas_f32 v1, v1, v5, v8
	v_div_fixup_f32 v0, v1, v0, v6
	v_cvt_f16_f32_e32 v5, v0
	v_cmp_neq_f32_e32 vcc, s0, v4
	v_lshl_add_u64 v[0:1], s[10:11], 1, v[2:3]
	s_nop 0
	v_cndmask_b32_e32 v2, 0, v5, vcc
	global_store_short v[0:1], v2, off
.LBB4_17:
	s_endpgm
	.section	.rodata,"a",@progbits
	.p2align	6, 0x0
	.amdhsa_kernel _Z34scaled_masked_softmax_warp_forwardI6__halfS0_fLi4EEvPT0_PKT_PKhT1_iii
		.amdhsa_group_segment_fixed_size 0
		.amdhsa_private_segment_fixed_size 0
		.amdhsa_kernarg_size 296
		.amdhsa_user_sgpr_count 2
		.amdhsa_user_sgpr_dispatch_ptr 0
		.amdhsa_user_sgpr_queue_ptr 0
		.amdhsa_user_sgpr_kernarg_segment_ptr 1
		.amdhsa_user_sgpr_dispatch_id 0
		.amdhsa_user_sgpr_kernarg_preload_length 0
		.amdhsa_user_sgpr_kernarg_preload_offset 0
		.amdhsa_user_sgpr_private_segment_size 0
		.amdhsa_uses_dynamic_stack 0
		.amdhsa_enable_private_segment 0
		.amdhsa_system_sgpr_workgroup_id_x 1
		.amdhsa_system_sgpr_workgroup_id_y 1
		.amdhsa_system_sgpr_workgroup_id_z 1
		.amdhsa_system_sgpr_workgroup_info 0
		.amdhsa_system_vgpr_workitem_id 1
		.amdhsa_next_free_vgpr 16
		.amdhsa_next_free_sgpr 18
		.amdhsa_accum_offset 16
		.amdhsa_reserve_vcc 1
		.amdhsa_float_round_mode_32 0
		.amdhsa_float_round_mode_16_64 0
		.amdhsa_float_denorm_mode_32 3
		.amdhsa_float_denorm_mode_16_64 3
		.amdhsa_dx10_clamp 1
		.amdhsa_ieee_mode 1
		.amdhsa_fp16_overflow 0
		.amdhsa_tg_split 0
		.amdhsa_exception_fp_ieee_invalid_op 0
		.amdhsa_exception_fp_denorm_src 0
		.amdhsa_exception_fp_ieee_div_zero 0
		.amdhsa_exception_fp_ieee_overflow 0
		.amdhsa_exception_fp_ieee_underflow 0
		.amdhsa_exception_fp_ieee_inexact 0
		.amdhsa_exception_int_div_zero 0
	.end_amdhsa_kernel
	.section	.text._Z34scaled_masked_softmax_warp_forwardI6__halfS0_fLi4EEvPT0_PKT_PKhT1_iii,"axG",@progbits,_Z34scaled_masked_softmax_warp_forwardI6__halfS0_fLi4EEvPT0_PKT_PKhT1_iii,comdat
.Lfunc_end4:
	.size	_Z34scaled_masked_softmax_warp_forwardI6__halfS0_fLi4EEvPT0_PKT_PKhT1_iii, .Lfunc_end4-_Z34scaled_masked_softmax_warp_forwardI6__halfS0_fLi4EEvPT0_PKT_PKhT1_iii
                                        ; -- End function
	.set _Z34scaled_masked_softmax_warp_forwardI6__halfS0_fLi4EEvPT0_PKT_PKhT1_iii.num_vgpr, 16
	.set _Z34scaled_masked_softmax_warp_forwardI6__halfS0_fLi4EEvPT0_PKT_PKhT1_iii.num_agpr, 0
	.set _Z34scaled_masked_softmax_warp_forwardI6__halfS0_fLi4EEvPT0_PKT_PKhT1_iii.numbered_sgpr, 18
	.set _Z34scaled_masked_softmax_warp_forwardI6__halfS0_fLi4EEvPT0_PKT_PKhT1_iii.num_named_barrier, 0
	.set _Z34scaled_masked_softmax_warp_forwardI6__halfS0_fLi4EEvPT0_PKT_PKhT1_iii.private_seg_size, 0
	.set _Z34scaled_masked_softmax_warp_forwardI6__halfS0_fLi4EEvPT0_PKT_PKhT1_iii.uses_vcc, 1
	.set _Z34scaled_masked_softmax_warp_forwardI6__halfS0_fLi4EEvPT0_PKT_PKhT1_iii.uses_flat_scratch, 0
	.set _Z34scaled_masked_softmax_warp_forwardI6__halfS0_fLi4EEvPT0_PKT_PKhT1_iii.has_dyn_sized_stack, 0
	.set _Z34scaled_masked_softmax_warp_forwardI6__halfS0_fLi4EEvPT0_PKT_PKhT1_iii.has_recursion, 0
	.set _Z34scaled_masked_softmax_warp_forwardI6__halfS0_fLi4EEvPT0_PKT_PKhT1_iii.has_indirect_call, 0
	.section	.AMDGPU.csdata,"",@progbits
; Kernel info:
; codeLenInByte = 1472
; TotalNumSgprs: 24
; NumVgprs: 16
; NumAgprs: 0
; TotalNumVgprs: 16
; ScratchSize: 0
; MemoryBound: 0
; FloatMode: 240
; IeeeMode: 1
; LDSByteSize: 0 bytes/workgroup (compile time only)
; SGPRBlocks: 2
; VGPRBlocks: 1
; NumSGPRsForWavesPerEU: 24
; NumVGPRsForWavesPerEU: 16
; AccumOffset: 16
; Occupancy: 8
; WaveLimiterHint : 0
; COMPUTE_PGM_RSRC2:SCRATCH_EN: 0
; COMPUTE_PGM_RSRC2:USER_SGPR: 2
; COMPUTE_PGM_RSRC2:TRAP_HANDLER: 0
; COMPUTE_PGM_RSRC2:TGID_X_EN: 1
; COMPUTE_PGM_RSRC2:TGID_Y_EN: 1
; COMPUTE_PGM_RSRC2:TGID_Z_EN: 1
; COMPUTE_PGM_RSRC2:TIDIG_COMP_CNT: 1
; COMPUTE_PGM_RSRC3_GFX90A:ACCUM_OFFSET: 3
; COMPUTE_PGM_RSRC3_GFX90A:TG_SPLIT: 0
	.section	.text._Z34scaled_masked_softmax_warp_forwardI6__halfS0_fLi5EEvPT0_PKT_PKhT1_iii,"axG",@progbits,_Z34scaled_masked_softmax_warp_forwardI6__halfS0_fLi5EEvPT0_PKT_PKhT1_iii,comdat
	.protected	_Z34scaled_masked_softmax_warp_forwardI6__halfS0_fLi5EEvPT0_PKT_PKhT1_iii ; -- Begin function _Z34scaled_masked_softmax_warp_forwardI6__halfS0_fLi5EEvPT0_PKT_PKhT1_iii
	.globl	_Z34scaled_masked_softmax_warp_forwardI6__halfS0_fLi5EEvPT0_PKT_PKhT1_iii
	.p2align	8
	.type	_Z34scaled_masked_softmax_warp_forwardI6__halfS0_fLi5EEvPT0_PKT_PKhT1_iii,@function
_Z34scaled_masked_softmax_warp_forwardI6__halfS0_fLi5EEvPT0_PKT_PKhT1_iii: ; @_Z34scaled_masked_softmax_warp_forwardI6__halfS0_fLi5EEvPT0_PKT_PKhT1_iii
; %bb.0:
	s_load_dword s5, s[0:1], 0x34
	s_load_dwordx4 s[8:11], s[0:1], 0x18
	s_load_dwordx2 s[16:17], s[0:1], 0x28
	s_waitcnt lgkmcnt(0)
	s_lshr_b32 s5, s5, 16
	s_cmp_eq_u32 s11, 1
	s_mov_b32 s11, s2
	s_cbranch_scc1 .LBB5_2
; %bb.1:
	s_mul_i32 s6, s16, s4
	s_add_i32 s11, s6, s2
.LBB5_2:
	s_load_dwordx4 s[12:15], s[0:1], 0x0
	s_load_dwordx2 s[6:7], s[0:1], 0x10
	s_mul_i32 s1, s17, s4
	s_add_i32 s1, s1, s3
	s_mul_i32 s1, s16, s1
	s_and_b32 s0, 0xffff, s5
	s_add_i32 s1, s1, s2
	s_mul_i32 s1, s1, s0
	v_bfe_u32 v4, v0, 10, 10
	v_add_lshl_u32 v2, s1, v4, 1
	v_sub_u32_e32 v1, s9, v2
	v_and_b32_e32 v0, 0x3ff, v0
	v_mad_u64_u32 v[2:3], s[2:3], v2, s10, v[0:1]
	v_ashrrev_i32_e32 v3, 31, v2
	v_cmp_lt_i32_e32 vcc, 0, v1
	v_mov_b32_e32 v9, 0
	v_mov_b32_e32 v8, 0
	s_and_saveexec_b64 s[4:5], vcc
	s_cbranch_execz .LBB5_12
; %bb.3:
	s_mul_i32 s0, s11, s0
	s_waitcnt lgkmcnt(0)
	v_mov_b32_e32 v6, s14
	v_mov_b32_e32 v7, s15
	v_add_u32_e32 v8, s0, v4
	v_lshl_add_u64 v[4:5], v[2:3], 1, v[6:7]
	v_mul_lo_u32 v6, s10, v8
	v_lshl_add_u32 v6, v6, 1, v0
	v_ashrrev_i32_e32 v7, 31, v6
	v_lshl_add_u64 v[6:7], s[6:7], 0, v[6:7]
	v_cmp_le_i32_e64 s[0:1], s10, v0
	v_cmp_gt_i32_e64 s[2:3], s10, v0
	v_mov_b32_e32 v9, 0
	v_mov_b32_e32 v8, 0xff800000
	s_and_saveexec_b64 s[6:7], s[2:3]
	s_cbranch_execz .LBB5_5
; %bb.4:
	global_load_ushort v8, v[4:5], off
	global_load_ubyte v10, v[6:7], off
	v_mov_b32_e32 v11, 0xc61c4000
	s_waitcnt vmcnt(1)
	v_cvt_f32_f16_e32 v8, v8
	s_waitcnt vmcnt(0)
	v_cmp_ne_u16_e64 s[2:3], 1, v10
	v_mul_f32_e32 v8, s8, v8
	s_nop 0
	v_cndmask_b32_e64 v8, v11, v8, s[2:3]
.LBB5_5:
	s_or_b64 exec, exec, s[6:7]
	v_cmp_ne_u32_e64 s[2:3], 1, v1
	s_and_saveexec_b64 s[6:7], s[2:3]
	s_xor_b64 s[2:3], exec, s[6:7]
	s_cbranch_execz .LBB5_11
; %bb.6:
	s_and_saveexec_b64 s[6:7], s[0:1]
	s_xor_b64 s[0:1], exec, s[6:7]
; %bb.7:
                                        ; implicit-def: $vgpr6_vgpr7
                                        ; implicit-def: $vgpr4_vgpr5
; %bb.8:
	s_or_saveexec_b64 s[6:7], s[0:1]
	v_mov_b32_e32 v9, 0xff800000
	s_xor_b64 exec, exec, s[6:7]
	s_cbranch_execz .LBB5_10
; %bb.9:
	s_mov_b32 s11, 0
	v_lshl_add_u64 v[4:5], s[10:11], 1, v[4:5]
	global_load_ushort v9, v[4:5], off
	v_lshl_add_u64 v[4:5], v[6:7], 0, s[10:11]
	global_load_ubyte v4, v[4:5], off
	v_mov_b32_e32 v6, 0xc61c4000
	s_waitcnt vmcnt(1)
	v_cvt_f32_f16_e32 v5, v9
	s_waitcnt vmcnt(0)
	v_cmp_eq_u16_e64 s[0:1], 1, v4
	v_mul_f32_e32 v5, s8, v5
	s_nop 0
	v_cndmask_b32_e64 v9, v5, v6, s[0:1]
.LBB5_10:
	s_or_b64 exec, exec, s[6:7]
.LBB5_11:
	s_or_b64 exec, exec, s[2:3]
.LBB5_12:
	s_or_b64 exec, exec, s[4:5]
	v_mbcnt_lo_u32_b32 v4, -1, 0
	v_mbcnt_hi_u32_b32 v4, -1, v4
	v_and_b32_e32 v5, 0x60, v4
	v_add_u32_e32 v5, 32, v5
	v_xor_b32_e32 v6, 16, v4
	v_cmp_lt_i32_e64 s[0:1], v6, v5
	v_xor_b32_e32 v11, 8, v4
	v_xor_b32_e32 v12, 4, v4
	v_cndmask_b32_e64 v6, v4, v6, s[0:1]
	v_lshlrev_b32_e32 v10, 2, v6
	ds_bpermute_b32 v6, v10, v8
	v_cmp_lt_i32_e64 s[0:1], v11, v5
	v_xor_b32_e32 v13, 2, v4
	ds_bpermute_b32 v7, v10, v9
	v_cndmask_b32_e64 v11, v4, v11, s[0:1]
	v_cmp_lt_i32_e64 s[0:1], v12, v5
	v_lshlrev_b32_e32 v11, 2, v11
	v_xor_b32_e32 v15, 1, v4
	v_cndmask_b32_e64 v12, v4, v12, s[0:1]
	v_cmp_lt_i32_e64 s[0:1], v13, v5
	v_lshlrev_b32_e32 v12, 2, v12
	s_mov_b32 s2, 0x3fb8aa3b
	v_cndmask_b32_e64 v13, v4, v13, s[0:1]
	s_waitcnt lgkmcnt(0)
	v_cmp_lt_f32_e64 s[0:1], v8, v6
	v_lshlrev_b32_e32 v13, 2, v13
	s_mov_b32 s3, 0xc2ce8ed0
	v_cndmask_b32_e64 v6, v8, v6, s[0:1]
	ds_bpermute_b32 v14, v11, v6
	v_cmp_lt_f32_e64 s[0:1], v9, v7
	s_mov_b32 s4, 0x42b17218
	s_nop 0
	v_cndmask_b32_e64 v7, v9, v7, s[0:1]
	s_waitcnt lgkmcnt(0)
	v_cmp_lt_f32_e64 s[0:1], v6, v14
	ds_bpermute_b32 v16, v11, v7
	s_nop 0
	v_cndmask_b32_e64 v6, v6, v14, s[0:1]
	ds_bpermute_b32 v14, v12, v6
	v_cmp_lt_i32_e64 s[0:1], v15, v5
	s_nop 1
	v_cndmask_b32_e64 v4, v4, v15, s[0:1]
	s_waitcnt lgkmcnt(1)
	v_cmp_lt_f32_e64 s[0:1], v7, v16
	v_lshlrev_b32_e32 v15, 2, v4
	s_nop 0
	v_cndmask_b32_e64 v5, v7, v16, s[0:1]
	s_waitcnt lgkmcnt(0)
	v_cmp_lt_f32_e64 s[0:1], v6, v14
	ds_bpermute_b32 v7, v12, v5
	s_nop 0
	v_cndmask_b32_e64 v6, v6, v14, s[0:1]
	ds_bpermute_b32 v14, v13, v6
	s_waitcnt lgkmcnt(1)
	v_cmp_lt_f32_e64 s[0:1], v5, v7
	s_nop 1
	v_cndmask_b32_e64 v4, v5, v7, s[0:1]
	s_waitcnt lgkmcnt(0)
	v_cmp_lt_f32_e64 s[0:1], v6, v14
	ds_bpermute_b32 v5, v13, v4
	s_nop 0
	v_cndmask_b32_e64 v6, v6, v14, s[0:1]
	ds_bpermute_b32 v7, v15, v6
	s_waitcnt lgkmcnt(1)
	v_cmp_lt_f32_e64 s[0:1], v4, v5
	s_nop 1
	v_cndmask_b32_e64 v4, v4, v5, s[0:1]
	s_waitcnt lgkmcnt(0)
	v_cmp_lt_f32_e64 s[0:1], v6, v7
	ds_bpermute_b32 v14, v15, v4
	s_nop 0
	v_cndmask_b32_e64 v5, v6, v7, s[0:1]
	v_sub_f32_e32 v6, v8, v5
	v_mul_f32_e32 v7, 0x3fb8aa3b, v6
	v_fma_f32 v8, v6, s2, -v7
	v_rndne_f32_e32 v16, v7
	v_fmac_f32_e32 v8, 0x32a5705f, v6
	v_sub_f32_e32 v7, v7, v16
	v_add_f32_e32 v7, v7, v8
	v_exp_f32_e32 v7, v7
	v_cvt_i32_f32_e32 v8, v16
	s_waitcnt lgkmcnt(0)
	v_cmp_lt_f32_e64 s[0:1], v4, v14
	v_ldexp_f32 v7, v7, v8
	s_nop 0
	v_cndmask_b32_e64 v4, v4, v14, s[0:1]
	v_sub_f32_e32 v8, v9, v4
	v_mul_f32_e32 v9, 0x3fb8aa3b, v8
	v_fma_f32 v14, v8, s2, -v9
	v_rndne_f32_e32 v16, v9
	v_fmac_f32_e32 v14, 0x32a5705f, v8
	v_sub_f32_e32 v9, v9, v16
	v_add_f32_e32 v9, v9, v14
	v_exp_f32_e32 v9, v9
	v_cvt_i32_f32_e32 v14, v16
	v_cmp_ngt_f32_e64 s[0:1], s3, v6
	v_mov_b32_e32 v16, 0x7f800000
	s_nop 0
	v_cndmask_b32_e64 v7, 0, v7, s[0:1]
	v_cmp_nlt_f32_e64 s[0:1], s4, v6
	v_ldexp_f32 v6, v9, v14
	s_nop 0
	v_cndmask_b32_e64 v7, v16, v7, s[0:1]
	v_cmp_ngt_f32_e64 s[0:1], s3, v8
	s_nop 1
	v_cndmask_b32_e64 v6, 0, v6, s[0:1]
	v_cmp_nlt_f32_e64 s[0:1], s4, v8
	ds_bpermute_b32 v8, v10, v7
	s_waitcnt lgkmcnt(0)
	v_add_f32_e32 v8, v7, v8
	v_cndmask_b32_e64 v6, v16, v6, s[0:1]
	ds_bpermute_b32 v9, v10, v6
	ds_bpermute_b32 v10, v11, v8
	s_waitcnt lgkmcnt(1)
	v_add_f32_e32 v9, v6, v9
	ds_bpermute_b32 v11, v11, v9
	s_waitcnt lgkmcnt(1)
	v_add_f32_e32 v8, v8, v10
	;; [unrolled: 3-line block ×6, first 2 shown]
	s_waitcnt lgkmcnt(0)
	v_add_f32_e32 v8, v9, v11
	ds_bpermute_b32 v11, v15, v10
	ds_bpermute_b32 v9, v15, v8
	s_and_saveexec_b64 s[0:1], vcc
	s_cbranch_execz .LBB5_17
; %bb.13:
	v_mov_b32_e32 v12, s12
	v_mov_b32_e32 v13, s13
	v_lshl_add_u64 v[2:3], v[2:3], 1, v[12:13]
	v_cmp_le_i32_e64 s[0:1], s10, v0
	v_cmp_gt_i32_e32 vcc, s10, v0
	s_and_saveexec_b64 s[2:3], vcc
	s_cbranch_execz .LBB5_15
; %bb.14:
	s_waitcnt lgkmcnt(1)
	v_add_f32_e32 v0, v10, v11
	v_div_scale_f32 v10, s[4:5], v0, v0, v7
	v_rcp_f32_e32 v11, v10
	v_div_scale_f32 v12, vcc, v7, v0, v7
	s_mov_b32 s4, 0xc61c4000
	v_fma_f32 v13, -v10, v11, 1.0
	v_fmac_f32_e32 v11, v13, v11
	v_mul_f32_e32 v13, v12, v11
	v_fma_f32 v14, -v10, v13, v12
	v_fmac_f32_e32 v13, v14, v11
	v_fma_f32 v10, -v10, v13, v12
	v_div_fmas_f32 v10, v10, v11, v13
	v_div_fixup_f32 v0, v10, v0, v7
	v_cvt_f16_f32_e32 v0, v0
	v_cmp_neq_f32_e32 vcc, s4, v5
	s_nop 1
	v_cndmask_b32_e32 v0, 0, v0, vcc
	global_store_short v[2:3], v0, off
.LBB5_15:
	s_or_b64 exec, exec, s[2:3]
	v_cmp_ne_u32_e32 vcc, 1, v1
	s_xor_b64 s[0:1], s[0:1], -1
	s_and_b64 s[0:1], vcc, s[0:1]
	s_and_saveexec_b64 s[2:3], s[0:1]
	s_xor_b64 s[2:3], exec, s[2:3]
	s_cbranch_execz .LBB5_17
; %bb.16:
	s_waitcnt lgkmcnt(0)
	v_add_f32_e32 v0, v8, v9
	v_div_scale_f32 v1, s[0:1], v0, v0, v6
	v_rcp_f32_e32 v5, v1
	s_mov_b32 s0, 0xc61c4000
	s_mov_b32 s11, 0
	v_fma_f32 v7, -v1, v5, 1.0
	v_fmac_f32_e32 v5, v7, v5
	v_div_scale_f32 v7, vcc, v6, v0, v6
	v_mul_f32_e32 v8, v7, v5
	v_fma_f32 v9, -v1, v8, v7
	v_fmac_f32_e32 v8, v9, v5
	v_fma_f32 v1, -v1, v8, v7
	v_div_fmas_f32 v1, v1, v5, v8
	v_div_fixup_f32 v0, v1, v0, v6
	v_cvt_f16_f32_e32 v5, v0
	v_cmp_neq_f32_e32 vcc, s0, v4
	v_lshl_add_u64 v[0:1], s[10:11], 1, v[2:3]
	s_nop 0
	v_cndmask_b32_e32 v2, 0, v5, vcc
	global_store_short v[0:1], v2, off
.LBB5_17:
	s_endpgm
	.section	.rodata,"a",@progbits
	.p2align	6, 0x0
	.amdhsa_kernel _Z34scaled_masked_softmax_warp_forwardI6__halfS0_fLi5EEvPT0_PKT_PKhT1_iii
		.amdhsa_group_segment_fixed_size 0
		.amdhsa_private_segment_fixed_size 0
		.amdhsa_kernarg_size 296
		.amdhsa_user_sgpr_count 2
		.amdhsa_user_sgpr_dispatch_ptr 0
		.amdhsa_user_sgpr_queue_ptr 0
		.amdhsa_user_sgpr_kernarg_segment_ptr 1
		.amdhsa_user_sgpr_dispatch_id 0
		.amdhsa_user_sgpr_kernarg_preload_length 0
		.amdhsa_user_sgpr_kernarg_preload_offset 0
		.amdhsa_user_sgpr_private_segment_size 0
		.amdhsa_uses_dynamic_stack 0
		.amdhsa_enable_private_segment 0
		.amdhsa_system_sgpr_workgroup_id_x 1
		.amdhsa_system_sgpr_workgroup_id_y 1
		.amdhsa_system_sgpr_workgroup_id_z 1
		.amdhsa_system_sgpr_workgroup_info 0
		.amdhsa_system_vgpr_workitem_id 1
		.amdhsa_next_free_vgpr 17
		.amdhsa_next_free_sgpr 18
		.amdhsa_accum_offset 20
		.amdhsa_reserve_vcc 1
		.amdhsa_float_round_mode_32 0
		.amdhsa_float_round_mode_16_64 0
		.amdhsa_float_denorm_mode_32 3
		.amdhsa_float_denorm_mode_16_64 3
		.amdhsa_dx10_clamp 1
		.amdhsa_ieee_mode 1
		.amdhsa_fp16_overflow 0
		.amdhsa_tg_split 0
		.amdhsa_exception_fp_ieee_invalid_op 0
		.amdhsa_exception_fp_denorm_src 0
		.amdhsa_exception_fp_ieee_div_zero 0
		.amdhsa_exception_fp_ieee_overflow 0
		.amdhsa_exception_fp_ieee_underflow 0
		.amdhsa_exception_fp_ieee_inexact 0
		.amdhsa_exception_int_div_zero 0
	.end_amdhsa_kernel
	.section	.text._Z34scaled_masked_softmax_warp_forwardI6__halfS0_fLi5EEvPT0_PKT_PKhT1_iii,"axG",@progbits,_Z34scaled_masked_softmax_warp_forwardI6__halfS0_fLi5EEvPT0_PKT_PKhT1_iii,comdat
.Lfunc_end5:
	.size	_Z34scaled_masked_softmax_warp_forwardI6__halfS0_fLi5EEvPT0_PKT_PKhT1_iii, .Lfunc_end5-_Z34scaled_masked_softmax_warp_forwardI6__halfS0_fLi5EEvPT0_PKT_PKhT1_iii
                                        ; -- End function
	.set _Z34scaled_masked_softmax_warp_forwardI6__halfS0_fLi5EEvPT0_PKT_PKhT1_iii.num_vgpr, 17
	.set _Z34scaled_masked_softmax_warp_forwardI6__halfS0_fLi5EEvPT0_PKT_PKhT1_iii.num_agpr, 0
	.set _Z34scaled_masked_softmax_warp_forwardI6__halfS0_fLi5EEvPT0_PKT_PKhT1_iii.numbered_sgpr, 18
	.set _Z34scaled_masked_softmax_warp_forwardI6__halfS0_fLi5EEvPT0_PKT_PKhT1_iii.num_named_barrier, 0
	.set _Z34scaled_masked_softmax_warp_forwardI6__halfS0_fLi5EEvPT0_PKT_PKhT1_iii.private_seg_size, 0
	.set _Z34scaled_masked_softmax_warp_forwardI6__halfS0_fLi5EEvPT0_PKT_PKhT1_iii.uses_vcc, 1
	.set _Z34scaled_masked_softmax_warp_forwardI6__halfS0_fLi5EEvPT0_PKT_PKhT1_iii.uses_flat_scratch, 0
	.set _Z34scaled_masked_softmax_warp_forwardI6__halfS0_fLi5EEvPT0_PKT_PKhT1_iii.has_dyn_sized_stack, 0
	.set _Z34scaled_masked_softmax_warp_forwardI6__halfS0_fLi5EEvPT0_PKT_PKhT1_iii.has_recursion, 0
	.set _Z34scaled_masked_softmax_warp_forwardI6__halfS0_fLi5EEvPT0_PKT_PKhT1_iii.has_indirect_call, 0
	.section	.AMDGPU.csdata,"",@progbits
; Kernel info:
; codeLenInByte = 1592
; TotalNumSgprs: 24
; NumVgprs: 17
; NumAgprs: 0
; TotalNumVgprs: 17
; ScratchSize: 0
; MemoryBound: 0
; FloatMode: 240
; IeeeMode: 1
; LDSByteSize: 0 bytes/workgroup (compile time only)
; SGPRBlocks: 2
; VGPRBlocks: 2
; NumSGPRsForWavesPerEU: 24
; NumVGPRsForWavesPerEU: 17
; AccumOffset: 20
; Occupancy: 8
; WaveLimiterHint : 0
; COMPUTE_PGM_RSRC2:SCRATCH_EN: 0
; COMPUTE_PGM_RSRC2:USER_SGPR: 2
; COMPUTE_PGM_RSRC2:TRAP_HANDLER: 0
; COMPUTE_PGM_RSRC2:TGID_X_EN: 1
; COMPUTE_PGM_RSRC2:TGID_Y_EN: 1
; COMPUTE_PGM_RSRC2:TGID_Z_EN: 1
; COMPUTE_PGM_RSRC2:TIDIG_COMP_CNT: 1
; COMPUTE_PGM_RSRC3_GFX90A:ACCUM_OFFSET: 4
; COMPUTE_PGM_RSRC3_GFX90A:TG_SPLIT: 0
	.section	.text._Z34scaled_masked_softmax_warp_forwardI6__halfS0_fLi6EEvPT0_PKT_PKhT1_iii,"axG",@progbits,_Z34scaled_masked_softmax_warp_forwardI6__halfS0_fLi6EEvPT0_PKT_PKhT1_iii,comdat
	.protected	_Z34scaled_masked_softmax_warp_forwardI6__halfS0_fLi6EEvPT0_PKT_PKhT1_iii ; -- Begin function _Z34scaled_masked_softmax_warp_forwardI6__halfS0_fLi6EEvPT0_PKT_PKhT1_iii
	.globl	_Z34scaled_masked_softmax_warp_forwardI6__halfS0_fLi6EEvPT0_PKT_PKhT1_iii
	.p2align	8
	.type	_Z34scaled_masked_softmax_warp_forwardI6__halfS0_fLi6EEvPT0_PKT_PKhT1_iii,@function
_Z34scaled_masked_softmax_warp_forwardI6__halfS0_fLi6EEvPT0_PKT_PKhT1_iii: ; @_Z34scaled_masked_softmax_warp_forwardI6__halfS0_fLi6EEvPT0_PKT_PKhT1_iii
; %bb.0:
	s_load_dword s5, s[0:1], 0x34
	s_load_dwordx4 s[8:11], s[0:1], 0x18
	s_load_dwordx2 s[6:7], s[0:1], 0x28
	s_waitcnt lgkmcnt(0)
	s_lshr_b32 s18, s5, 16
	s_cmp_eq_u32 s11, 1
	s_mov_b32 s5, s2
	s_cbranch_scc1 .LBB6_2
; %bb.1:
	s_mul_i32 s5, s6, s4
	s_add_i32 s5, s5, s2
.LBB6_2:
	s_load_dwordx4 s[12:15], s[0:1], 0x0
	s_load_dwordx2 s[16:17], s[0:1], 0x10
	s_mul_i32 s1, s7, s4
	s_add_i32 s1, s1, s3
	s_mul_i32 s1, s6, s1
	s_and_b32 s0, 0xffff, s18
	s_add_i32 s1, s1, s2
	s_mul_i32 s1, s1, s0
	v_bfe_u32 v4, v0, 10, 10
	v_add_lshl_u32 v2, s1, v4, 1
	v_sub_u32_e32 v1, s9, v2
	v_and_b32_e32 v0, 0x3ff, v0
	v_mad_u64_u32 v[2:3], s[2:3], v2, s10, v[0:1]
	v_ashrrev_i32_e32 v3, 31, v2
	v_cmp_lt_i32_e32 vcc, 0, v1
                                        ; implicit-def: $vgpr8
                                        ; implicit-def: $vgpr10
                                        ; implicit-def: $vgpr9
                                        ; implicit-def: $vgpr11
	s_and_saveexec_b64 s[6:7], vcc
	s_cbranch_execz .LBB6_22
; %bb.3:
	s_mul_i32 s0, s5, s0
	s_waitcnt lgkmcnt(0)
	v_mov_b32_e32 v6, s14
	v_mov_b32_e32 v7, s15
	v_add_u32_e32 v8, s0, v4
	v_lshl_add_u64 v[4:5], v[2:3], 1, v[6:7]
	v_mul_lo_u32 v6, s10, v8
	v_lshl_add_u32 v6, v6, 1, v0
	v_ashrrev_i32_e32 v7, 31, v6
	v_lshl_add_u64 v[6:7], s[16:17], 0, v[6:7]
	v_cmp_gt_i32_e64 s[2:3], s10, v0
	v_mov_b32_e32 v8, 0xff800000
	v_mov_b32_e32 v9, 0xff800000
	s_and_saveexec_b64 s[4:5], s[2:3]
	s_cbranch_execz .LBB6_7
; %bb.4:
	global_load_ubyte v9, v[6:7], off
	s_waitcnt vmcnt(0)
	v_cmp_ne_u16_e64 s[0:1], 1, v9
	v_mov_b32_e32 v9, 0xc61c4000
	s_and_saveexec_b64 s[14:15], s[0:1]
	s_cbranch_execz .LBB6_6
; %bb.5:
	global_load_ushort v9, v[4:5], off
	s_waitcnt vmcnt(0)
	v_cvt_f32_f16_e32 v9, v9
	v_mul_f32_e32 v9, s8, v9
.LBB6_6:
	s_or_b64 exec, exec, s[14:15]
.LBB6_7:
	s_or_b64 exec, exec, s[4:5]
	v_add_u32_e32 v10, 32, v0
	v_cmp_gt_i32_e64 s[0:1], s10, v10
	s_and_saveexec_b64 s[14:15], s[0:1]
	s_cbranch_execz .LBB6_11
; %bb.8:
	global_load_ubyte v8, v[6:7], off offset:32
	s_waitcnt vmcnt(0)
	v_cmp_ne_u16_e64 s[4:5], 1, v8
	v_mov_b32_e32 v8, 0xc61c4000
	s_and_saveexec_b64 s[16:17], s[4:5]
	s_cbranch_execz .LBB6_10
; %bb.9:
	global_load_ushort v8, v[4:5], off offset:64
	s_waitcnt vmcnt(0)
	v_cvt_f32_f16_e32 v8, v8
	v_mul_f32_e32 v8, s8, v8
.LBB6_10:
	s_or_b64 exec, exec, s[16:17]
.LBB6_11:
	s_or_b64 exec, exec, s[14:15]
	v_cmp_ne_u32_e64 s[4:5], 1, v1
                                        ; implicit-def: $vgpr10
                                        ; implicit-def: $vgpr11
	s_and_saveexec_b64 s[14:15], s[4:5]
	s_cbranch_execz .LBB6_21
; %bb.12:
	v_mov_b32_e32 v10, 0xff800000
	v_mov_b32_e32 v11, 0xff800000
	s_and_saveexec_b64 s[4:5], s[2:3]
	s_cbranch_execz .LBB6_16
; %bb.13:
	s_mov_b32 s11, 0
	v_lshl_add_u64 v[12:13], v[6:7], 0, s[10:11]
	global_load_ubyte v11, v[12:13], off
	s_waitcnt vmcnt(0)
	v_cmp_ne_u16_e64 s[2:3], 1, v11
	v_mov_b32_e32 v11, 0xc61c4000
	s_and_saveexec_b64 s[16:17], s[2:3]
	s_cbranch_execz .LBB6_15
; %bb.14:
	v_lshl_add_u64 v[12:13], s[10:11], 1, v[4:5]
	global_load_ushort v11, v[12:13], off
	s_waitcnt vmcnt(0)
	v_cvt_f32_f16_e32 v11, v11
	v_mul_f32_e32 v11, s8, v11
.LBB6_15:
	s_or_b64 exec, exec, s[16:17]
.LBB6_16:
	s_or_b64 exec, exec, s[4:5]
	s_and_saveexec_b64 s[2:3], s[0:1]
	s_xor_b64 s[2:3], exec, s[2:3]
	s_cbranch_execz .LBB6_20
; %bb.17:
	s_mov_b32 s11, 0
	v_lshl_add_u64 v[6:7], v[6:7], 0, s[10:11]
	global_load_ubyte v6, v[6:7], off offset:32
	v_mov_b32_e32 v10, 0xc61c4000
	s_waitcnt vmcnt(0)
	v_cmp_ne_u16_e64 s[0:1], 1, v6
	s_and_saveexec_b64 s[4:5], s[0:1]
	s_xor_b64 s[0:1], exec, s[4:5]
	s_cbranch_execz .LBB6_19
; %bb.18:
	v_lshl_add_u64 v[4:5], s[10:11], 1, v[4:5]
	global_load_ushort v4, v[4:5], off offset:64
	s_waitcnt vmcnt(0)
	v_cvt_f32_f16_e32 v4, v4
	v_mul_f32_e32 v10, s8, v4
.LBB6_19:
	s_or_b64 exec, exec, s[0:1]
.LBB6_20:
	s_or_b64 exec, exec, s[2:3]
.LBB6_21:
	s_or_b64 exec, exec, s[14:15]
.LBB6_22:
	s_or_b64 exec, exec, s[6:7]
	v_mbcnt_lo_u32_b32 v4, -1, 0
	v_mbcnt_hi_u32_b32 v4, -1, v4
	v_and_b32_e32 v5, 0x60, v4
	v_add_u32_e32 v5, 32, v5
	v_xor_b32_e32 v6, 16, v4
	v_cmp_lt_i32_e64 s[0:1], v6, v5
	v_xor_b32_e32 v18, 1, v4
	s_mov_b32 s2, 0x3fb8aa3b
	v_cndmask_b32_e64 v6, v4, v6, s[0:1]
	v_lshlrev_b32_e32 v14, 2, v6
	v_xor_b32_e32 v6, 8, v4
	v_cmp_lt_i32_e64 s[0:1], v6, v5
	s_mov_b32 s3, 0xc2ce8ed0
	s_mov_b32 s4, 0x42b17218
	v_cndmask_b32_e64 v6, v4, v6, s[0:1]
	v_lshlrev_b32_e32 v15, 2, v6
	v_xor_b32_e32 v6, 4, v4
	v_cmp_lt_i32_e64 s[0:1], v6, v5
	v_mov_b32_e32 v19, 0x7f800000
	s_nop 0
	v_cndmask_b32_e64 v6, v4, v6, s[0:1]
	v_lshlrev_b32_e32 v16, 2, v6
	v_xor_b32_e32 v6, 2, v4
	v_cmp_lt_i32_e64 s[0:1], v6, v5
	s_nop 1
	v_cndmask_b32_e64 v6, v4, v6, s[0:1]
	v_cmp_gt_f32_e64 s[0:1], v9, v8
	v_lshlrev_b32_e32 v17, 2, v6
	s_nop 0
	v_cndmask_b32_e64 v7, v8, v9, s[0:1]
	ds_bpermute_b32 v12, v14, v7
	v_cmp_gt_f32_e64 s[0:1], v11, v10
	s_nop 1
	v_cndmask_b32_e64 v6, v10, v11, s[0:1]
	s_waitcnt lgkmcnt(0)
	v_cmp_lt_f32_e64 s[0:1], v7, v12
	ds_bpermute_b32 v13, v14, v6
	s_nop 0
	v_cndmask_b32_e64 v7, v7, v12, s[0:1]
	ds_bpermute_b32 v12, v15, v7
	s_waitcnt lgkmcnt(1)
	v_cmp_lt_f32_e64 s[0:1], v6, v13
	s_nop 1
	v_cndmask_b32_e64 v6, v6, v13, s[0:1]
	s_waitcnt lgkmcnt(0)
	v_cmp_lt_f32_e64 s[0:1], v7, v12
	ds_bpermute_b32 v13, v15, v6
	s_nop 0
	v_cndmask_b32_e64 v7, v7, v12, s[0:1]
	ds_bpermute_b32 v12, v16, v7
	v_cmp_lt_i32_e64 s[0:1], v18, v5
	s_nop 1
	v_cndmask_b32_e64 v4, v4, v18, s[0:1]
	s_waitcnt lgkmcnt(1)
	v_cmp_lt_f32_e64 s[0:1], v6, v13
	v_lshlrev_b32_e32 v18, 2, v4
	s_nop 0
	v_cndmask_b32_e64 v5, v6, v13, s[0:1]
	s_waitcnt lgkmcnt(0)
	v_cmp_lt_f32_e64 s[0:1], v7, v12
	ds_bpermute_b32 v6, v16, v5
	s_nop 0
	v_cndmask_b32_e64 v7, v7, v12, s[0:1]
	ds_bpermute_b32 v12, v17, v7
	s_waitcnt lgkmcnt(1)
	v_cmp_lt_f32_e64 s[0:1], v5, v6
	s_nop 1
	v_cndmask_b32_e64 v4, v5, v6, s[0:1]
	s_waitcnt lgkmcnt(0)
	v_cmp_lt_f32_e64 s[0:1], v7, v12
	ds_bpermute_b32 v5, v17, v4
	s_nop 0
	v_cndmask_b32_e64 v6, v7, v12, s[0:1]
	ds_bpermute_b32 v7, v18, v6
	s_waitcnt lgkmcnt(1)
	v_cmp_lt_f32_e64 s[0:1], v4, v5
	s_nop 1
	v_cndmask_b32_e64 v4, v4, v5, s[0:1]
	s_waitcnt lgkmcnt(0)
	v_cmp_lt_f32_e64 s[0:1], v6, v7
	ds_bpermute_b32 v5, v18, v4
	s_nop 0
	v_cndmask_b32_e64 v12, v6, v7, s[0:1]
	v_sub_f32_e32 v6, v9, v12
	v_mul_f32_e32 v7, 0x3fb8aa3b, v6
	v_fma_f32 v9, v6, s2, -v7
	v_rndne_f32_e32 v13, v7
	v_fmac_f32_e32 v9, 0x32a5705f, v6
	v_sub_f32_e32 v7, v7, v13
	v_add_f32_e32 v7, v7, v9
	v_exp_f32_e32 v7, v7
	v_cvt_i32_f32_e32 v9, v13
	s_waitcnt lgkmcnt(0)
	v_cmp_lt_f32_e64 s[0:1], v4, v5
	s_nop 1
	v_cndmask_b32_e64 v5, v4, v5, s[0:1]
	v_ldexp_f32 v4, v7, v9
	v_sub_f32_e32 v7, v8, v12
	v_mul_f32_e32 v8, 0x3fb8aa3b, v7
	v_fma_f32 v9, v7, s2, -v8
	v_rndne_f32_e32 v13, v8
	v_fmac_f32_e32 v9, 0x32a5705f, v7
	v_sub_f32_e32 v8, v8, v13
	v_add_f32_e32 v8, v8, v9
	v_exp_f32_e32 v8, v8
	v_cvt_i32_f32_e32 v9, v13
	v_cmp_ngt_f32_e64 s[0:1], s3, v6
	s_nop 1
	v_cndmask_b32_e64 v4, 0, v4, s[0:1]
	v_cmp_nlt_f32_e64 s[0:1], s4, v6
	v_sub_f32_e32 v6, v11, v5
	s_nop 0
	v_cndmask_b32_e64 v13, v19, v4, s[0:1]
	v_ldexp_f32 v4, v8, v9
	v_mul_f32_e32 v8, 0x3fb8aa3b, v6
	v_fma_f32 v9, v6, s2, -v8
	v_rndne_f32_e32 v11, v8
	v_fmac_f32_e32 v9, 0x32a5705f, v6
	v_sub_f32_e32 v8, v8, v11
	v_add_f32_e32 v8, v8, v9
	v_exp_f32_e32 v8, v8
	v_cvt_i32_f32_e32 v9, v11
	v_cmp_ngt_f32_e64 s[0:1], s3, v7
	s_nop 1
	v_cndmask_b32_e64 v4, 0, v4, s[0:1]
	v_cmp_nlt_f32_e64 s[0:1], s4, v7
	s_nop 1
	v_cndmask_b32_e64 v7, v19, v4, s[0:1]
	v_ldexp_f32 v4, v8, v9
	v_sub_f32_e32 v8, v10, v5
	v_mul_f32_e32 v9, 0x3fb8aa3b, v8
	v_fma_f32 v10, v8, s2, -v9
	v_rndne_f32_e32 v20, v9
	v_fmac_f32_e32 v10, 0x32a5705f, v8
	v_sub_f32_e32 v9, v9, v20
	v_add_f32_e32 v9, v9, v10
	v_exp_f32_e32 v9, v9
	v_cvt_i32_f32_e32 v10, v20
	v_cmp_ngt_f32_e64 s[0:1], s3, v6
	v_add_f32_e32 v11, v13, v7
	s_nop 0
	v_cndmask_b32_e64 v4, 0, v4, s[0:1]
	v_cmp_nlt_f32_e64 s[0:1], s4, v6
	s_nop 1
	v_cndmask_b32_e64 v6, v19, v4, s[0:1]
	v_ldexp_f32 v4, v9, v10
	v_cmp_ngt_f32_e64 s[0:1], s3, v8
	ds_bpermute_b32 v9, v14, v11
	s_waitcnt lgkmcnt(0)
	v_add_f32_e32 v9, v11, v9
	v_cndmask_b32_e64 v4, 0, v4, s[0:1]
	v_cmp_nlt_f32_e64 s[0:1], s4, v8
	s_nop 1
	v_cndmask_b32_e64 v4, v19, v4, s[0:1]
	v_add_f32_e32 v8, v6, v4
	ds_bpermute_b32 v10, v14, v8
	s_waitcnt lgkmcnt(0)
	v_add_f32_e32 v8, v8, v10
	ds_bpermute_b32 v10, v15, v9
	ds_bpermute_b32 v11, v15, v8
	s_waitcnt lgkmcnt(1)
	v_add_f32_e32 v9, v9, v10
	s_waitcnt lgkmcnt(0)
	v_add_f32_e32 v8, v8, v11
	ds_bpermute_b32 v10, v16, v9
	ds_bpermute_b32 v11, v16, v8
	s_waitcnt lgkmcnt(1)
	v_add_f32_e32 v9, v9, v10
	;; [unrolled: 6-line block ×3, first 2 shown]
	s_waitcnt lgkmcnt(0)
	v_add_f32_e32 v8, v8, v11
	ds_bpermute_b32 v11, v18, v10
	ds_bpermute_b32 v9, v18, v8
	s_and_saveexec_b64 s[0:1], vcc
	s_cbranch_execz .LBB6_38
; %bb.23:
	v_mov_b32_e32 v14, s12
	v_mov_b32_e32 v15, s13
	v_lshl_add_u64 v[2:3], v[2:3], 1, v[14:15]
	v_cmp_gt_i32_e64 s[0:1], s10, v0
	s_and_saveexec_b64 s[4:5], s[0:1]
	s_cbranch_execz .LBB6_30
; %bb.24:
	s_mov_b32 s2, 0xc61c4000
	v_cmp_neq_f32_e64 s[2:3], s2, v12
	s_waitcnt lgkmcnt(1)
	v_add_f32_e32 v10, v10, v11
	v_mov_b32_e32 v11, 0
	s_and_saveexec_b64 s[6:7], s[2:3]
	s_cbranch_execz .LBB6_26
; %bb.25:
	v_div_scale_f32 v11, s[8:9], v10, v10, v13
	v_rcp_f32_e32 v12, v11
	v_div_scale_f32 v14, vcc, v13, v10, v13
	v_fma_f32 v15, -v11, v12, 1.0
	v_fmac_f32_e32 v12, v15, v12
	v_mul_f32_e32 v15, v14, v12
	v_fma_f32 v16, -v11, v15, v14
	v_fmac_f32_e32 v15, v16, v12
	v_fma_f32 v11, -v11, v15, v14
	v_div_fmas_f32 v11, v11, v12, v15
	v_div_fixup_f32 v11, v11, v10, v13
	v_cvt_f16_f32_e32 v11, v11
.LBB6_26:
	s_or_b64 exec, exec, s[6:7]
	global_store_short v[2:3], v11, off
	v_add_u32_e32 v11, 32, v0
	v_cmp_gt_u32_e32 vcc, s10, v11
	s_and_b64 exec, exec, vcc
	s_cbranch_execz .LBB6_30
; %bb.27:
	v_mov_b32_e32 v11, 0
	s_and_saveexec_b64 s[6:7], s[2:3]
	s_cbranch_execz .LBB6_29
; %bb.28:
	v_div_scale_f32 v11, s[2:3], v10, v10, v7
	v_rcp_f32_e32 v12, v11
	v_div_scale_f32 v13, vcc, v7, v10, v7
	v_fma_f32 v14, -v11, v12, 1.0
	v_fmac_f32_e32 v12, v14, v12
	v_mul_f32_e32 v14, v13, v12
	v_fma_f32 v15, -v11, v14, v13
	v_fmac_f32_e32 v14, v15, v12
	v_fma_f32 v11, -v11, v14, v13
	v_div_fmas_f32 v11, v11, v12, v14
	v_div_fixup_f32 v7, v11, v10, v7
	v_cvt_f16_f32_e32 v11, v7
.LBB6_29:
	s_or_b64 exec, exec, s[6:7]
	global_store_short v[2:3], v11, off offset:64
.LBB6_30:
	s_or_b64 exec, exec, s[4:5]
	v_cmp_ne_u32_e32 vcc, 1, v1
	s_and_saveexec_b64 s[2:3], vcc
	s_xor_b64 s[2:3], exec, s[2:3]
	s_cbranch_execz .LBB6_38
; %bb.31:
	s_and_b64 exec, exec, s[0:1]
	s_cbranch_execz .LBB6_38
; %bb.32:
	s_mov_b32 s0, 0xc61c4000
	v_cmp_neq_f32_e64 s[0:1], s0, v5
	s_waitcnt lgkmcnt(0)
	v_add_f32_e32 v1, v8, v9
	v_mov_b32_e32 v5, 0
	s_and_saveexec_b64 s[2:3], s[0:1]
	s_cbranch_execz .LBB6_34
; %bb.33:
	v_div_scale_f32 v5, s[4:5], v1, v1, v6
	v_rcp_f32_e32 v7, v5
	v_div_scale_f32 v8, vcc, v6, v1, v6
	v_fma_f32 v9, -v5, v7, 1.0
	v_fmac_f32_e32 v7, v9, v7
	v_mul_f32_e32 v9, v8, v7
	v_fma_f32 v10, -v5, v9, v8
	v_fmac_f32_e32 v9, v10, v7
	v_fma_f32 v5, -v5, v9, v8
	v_div_fmas_f32 v5, v5, v7, v9
	v_div_fixup_f32 v5, v5, v1, v6
	v_cvt_f16_f32_e32 v5, v5
.LBB6_34:
	s_or_b64 exec, exec, s[2:3]
	s_ashr_i32 s11, s10, 31
	v_add_u32_e32 v0, 32, v0
	v_lshl_add_u64 v[2:3], s[10:11], 1, v[2:3]
	v_cmp_gt_u32_e32 vcc, s10, v0
	global_store_short v[2:3], v5, off
	s_and_b64 exec, exec, vcc
	s_cbranch_execz .LBB6_38
; %bb.35:
	v_mov_b32_e32 v0, 0
	s_and_saveexec_b64 s[2:3], s[0:1]
	s_cbranch_execz .LBB6_37
; %bb.36:
	v_div_scale_f32 v0, s[0:1], v1, v1, v4
	v_rcp_f32_e32 v5, v0
	v_div_scale_f32 v6, vcc, v4, v1, v4
	v_fma_f32 v7, -v0, v5, 1.0
	v_fmac_f32_e32 v5, v7, v5
	v_mul_f32_e32 v7, v6, v5
	v_fma_f32 v8, -v0, v7, v6
	v_fmac_f32_e32 v7, v8, v5
	v_fma_f32 v0, -v0, v7, v6
	v_div_fmas_f32 v0, v0, v5, v7
	v_div_fixup_f32 v0, v0, v1, v4
	v_cvt_f16_f32_e32 v0, v0
.LBB6_37:
	s_or_b64 exec, exec, s[2:3]
	global_store_short v[2:3], v0, off offset:64
.LBB6_38:
	s_endpgm
	.section	.rodata,"a",@progbits
	.p2align	6, 0x0
	.amdhsa_kernel _Z34scaled_masked_softmax_warp_forwardI6__halfS0_fLi6EEvPT0_PKT_PKhT1_iii
		.amdhsa_group_segment_fixed_size 0
		.amdhsa_private_segment_fixed_size 0
		.amdhsa_kernarg_size 296
		.amdhsa_user_sgpr_count 2
		.amdhsa_user_sgpr_dispatch_ptr 0
		.amdhsa_user_sgpr_queue_ptr 0
		.amdhsa_user_sgpr_kernarg_segment_ptr 1
		.amdhsa_user_sgpr_dispatch_id 0
		.amdhsa_user_sgpr_kernarg_preload_length 0
		.amdhsa_user_sgpr_kernarg_preload_offset 0
		.amdhsa_user_sgpr_private_segment_size 0
		.amdhsa_uses_dynamic_stack 0
		.amdhsa_enable_private_segment 0
		.amdhsa_system_sgpr_workgroup_id_x 1
		.amdhsa_system_sgpr_workgroup_id_y 1
		.amdhsa_system_sgpr_workgroup_id_z 1
		.amdhsa_system_sgpr_workgroup_info 0
		.amdhsa_system_vgpr_workitem_id 1
		.amdhsa_next_free_vgpr 21
		.amdhsa_next_free_sgpr 19
		.amdhsa_accum_offset 24
		.amdhsa_reserve_vcc 1
		.amdhsa_float_round_mode_32 0
		.amdhsa_float_round_mode_16_64 0
		.amdhsa_float_denorm_mode_32 3
		.amdhsa_float_denorm_mode_16_64 3
		.amdhsa_dx10_clamp 1
		.amdhsa_ieee_mode 1
		.amdhsa_fp16_overflow 0
		.amdhsa_tg_split 0
		.amdhsa_exception_fp_ieee_invalid_op 0
		.amdhsa_exception_fp_denorm_src 0
		.amdhsa_exception_fp_ieee_div_zero 0
		.amdhsa_exception_fp_ieee_overflow 0
		.amdhsa_exception_fp_ieee_underflow 0
		.amdhsa_exception_fp_ieee_inexact 0
		.amdhsa_exception_int_div_zero 0
	.end_amdhsa_kernel
	.section	.text._Z34scaled_masked_softmax_warp_forwardI6__halfS0_fLi6EEvPT0_PKT_PKhT1_iii,"axG",@progbits,_Z34scaled_masked_softmax_warp_forwardI6__halfS0_fLi6EEvPT0_PKT_PKhT1_iii,comdat
.Lfunc_end6:
	.size	_Z34scaled_masked_softmax_warp_forwardI6__halfS0_fLi6EEvPT0_PKT_PKhT1_iii, .Lfunc_end6-_Z34scaled_masked_softmax_warp_forwardI6__halfS0_fLi6EEvPT0_PKT_PKhT1_iii
                                        ; -- End function
	.set _Z34scaled_masked_softmax_warp_forwardI6__halfS0_fLi6EEvPT0_PKT_PKhT1_iii.num_vgpr, 21
	.set _Z34scaled_masked_softmax_warp_forwardI6__halfS0_fLi6EEvPT0_PKT_PKhT1_iii.num_agpr, 0
	.set _Z34scaled_masked_softmax_warp_forwardI6__halfS0_fLi6EEvPT0_PKT_PKhT1_iii.numbered_sgpr, 19
	.set _Z34scaled_masked_softmax_warp_forwardI6__halfS0_fLi6EEvPT0_PKT_PKhT1_iii.num_named_barrier, 0
	.set _Z34scaled_masked_softmax_warp_forwardI6__halfS0_fLi6EEvPT0_PKT_PKhT1_iii.private_seg_size, 0
	.set _Z34scaled_masked_softmax_warp_forwardI6__halfS0_fLi6EEvPT0_PKT_PKhT1_iii.uses_vcc, 1
	.set _Z34scaled_masked_softmax_warp_forwardI6__halfS0_fLi6EEvPT0_PKT_PKhT1_iii.uses_flat_scratch, 0
	.set _Z34scaled_masked_softmax_warp_forwardI6__halfS0_fLi6EEvPT0_PKT_PKhT1_iii.has_dyn_sized_stack, 0
	.set _Z34scaled_masked_softmax_warp_forwardI6__halfS0_fLi6EEvPT0_PKT_PKhT1_iii.has_recursion, 0
	.set _Z34scaled_masked_softmax_warp_forwardI6__halfS0_fLi6EEvPT0_PKT_PKhT1_iii.has_indirect_call, 0
	.section	.AMDGPU.csdata,"",@progbits
; Kernel info:
; codeLenInByte = 2264
; TotalNumSgprs: 25
; NumVgprs: 21
; NumAgprs: 0
; TotalNumVgprs: 21
; ScratchSize: 0
; MemoryBound: 0
; FloatMode: 240
; IeeeMode: 1
; LDSByteSize: 0 bytes/workgroup (compile time only)
; SGPRBlocks: 3
; VGPRBlocks: 2
; NumSGPRsForWavesPerEU: 25
; NumVGPRsForWavesPerEU: 21
; AccumOffset: 24
; Occupancy: 8
; WaveLimiterHint : 0
; COMPUTE_PGM_RSRC2:SCRATCH_EN: 0
; COMPUTE_PGM_RSRC2:USER_SGPR: 2
; COMPUTE_PGM_RSRC2:TRAP_HANDLER: 0
; COMPUTE_PGM_RSRC2:TGID_X_EN: 1
; COMPUTE_PGM_RSRC2:TGID_Y_EN: 1
; COMPUTE_PGM_RSRC2:TGID_Z_EN: 1
; COMPUTE_PGM_RSRC2:TIDIG_COMP_CNT: 1
; COMPUTE_PGM_RSRC3_GFX90A:ACCUM_OFFSET: 5
; COMPUTE_PGM_RSRC3_GFX90A:TG_SPLIT: 0
	.section	.text._Z34scaled_masked_softmax_warp_forwardI6__halfS0_fLi7EEvPT0_PKT_PKhT1_iii,"axG",@progbits,_Z34scaled_masked_softmax_warp_forwardI6__halfS0_fLi7EEvPT0_PKT_PKhT1_iii,comdat
	.protected	_Z34scaled_masked_softmax_warp_forwardI6__halfS0_fLi7EEvPT0_PKT_PKhT1_iii ; -- Begin function _Z34scaled_masked_softmax_warp_forwardI6__halfS0_fLi7EEvPT0_PKT_PKhT1_iii
	.globl	_Z34scaled_masked_softmax_warp_forwardI6__halfS0_fLi7EEvPT0_PKT_PKhT1_iii
	.p2align	8
	.type	_Z34scaled_masked_softmax_warp_forwardI6__halfS0_fLi7EEvPT0_PKT_PKhT1_iii,@function
_Z34scaled_masked_softmax_warp_forwardI6__halfS0_fLi7EEvPT0_PKT_PKhT1_iii: ; @_Z34scaled_masked_softmax_warp_forwardI6__halfS0_fLi7EEvPT0_PKT_PKhT1_iii
; %bb.0:
	s_load_dword s5, s[0:1], 0x34
	s_load_dwordx4 s[8:11], s[0:1], 0x18
	s_load_dwordx2 s[16:17], s[0:1], 0x28
	s_waitcnt lgkmcnt(0)
	s_lshr_b32 s5, s5, 16
	s_cmp_eq_u32 s11, 1
	s_mov_b32 s11, s2
	s_cbranch_scc1 .LBB7_2
; %bb.1:
	s_mul_i32 s6, s16, s4
	s_add_i32 s11, s6, s2
.LBB7_2:
	s_load_dwordx4 s[12:15], s[0:1], 0x0
	s_load_dwordx2 s[6:7], s[0:1], 0x10
	s_mul_i32 s1, s17, s4
	s_add_i32 s1, s1, s3
	s_mul_i32 s1, s16, s1
	s_and_b32 s0, 0xffff, s5
	s_add_i32 s1, s1, s2
	s_mul_i32 s1, s1, s0
	v_bfe_u32 v4, v0, 10, 10
	v_add_lshl_u32 v2, s1, v4, 1
	v_lshlrev_b32_e32 v0, 2, v0
	v_sub_u32_e32 v1, s9, v2
	v_and_b32_e32 v0, 0xffc, v0
	v_mad_u64_u32 v[2:3], s[2:3], v2, s10, v[0:1]
	v_ashrrev_i32_e32 v3, 31, v2
	v_cmp_lt_i32_e32 vcc, 0, v1
                                        ; implicit-def: $vgpr10
                                        ; implicit-def: $vgpr11
                                        ; implicit-def: $vgpr12
                                        ; implicit-def: $vgpr14
                                        ; implicit-def: $vgpr13
                                        ; implicit-def: $vgpr15
                                        ; implicit-def: $vgpr8
                                        ; implicit-def: $vgpr9
	s_and_saveexec_b64 s[4:5], vcc
	s_cbranch_execz .LBB7_14
; %bb.3:
	s_mul_i32 s0, s11, s0
	s_waitcnt lgkmcnt(0)
	v_mov_b32_e32 v6, s14
	v_mov_b32_e32 v7, s15
	v_add_u32_e32 v8, s0, v4
	v_lshl_add_u64 v[4:5], v[2:3], 1, v[6:7]
	v_mul_lo_u32 v6, s10, v8
	v_lshl_add_u32 v6, v6, 1, v0
	v_ashrrev_i32_e32 v7, 31, v6
	v_lshl_add_u64 v[6:7], s[6:7], 0, v[6:7]
	v_cmp_gt_i32_e64 s[0:1], s10, v0
	v_mov_b32_e32 v13, 0xff800000
	v_mov_b32_e32 v12, 0xff800000
	;; [unrolled: 1-line block ×4, first 2 shown]
	s_and_saveexec_b64 s[6:7], s[0:1]
	s_cbranch_execz .LBB7_7
; %bb.4:
	global_load_dword v8, v[6:7], off
	global_load_dword v12, v[4:5], off offset:2
	global_load_ushort v10, v[4:5], off offset:6
	v_mov_b32_e32 v9, 1
	s_movk_i32 s9, 0xff
	v_mov_b32_e32 v11, 0xc61c4000
	v_mov_b32_e32 v13, 0xc61c4000
	s_waitcnt vmcnt(2)
	v_lshrrev_b32_e32 v14, 8, v8
	v_cmp_ne_u16_sdwa s[14:15], v8, v9 src0_sel:BYTE_0 src1_sel:DWORD
	s_and_saveexec_b64 s[2:3], s[14:15]
	s_cbranch_execz .LBB7_6
; %bb.5:
	global_load_ushort v13, v[4:5], off
	s_waitcnt vmcnt(0)
	v_cvt_f32_f16_e32 v13, v13
	v_mul_f32_e32 v13, s8, v13
.LBB7_6:
	s_or_b64 exec, exec, s[2:3]
	s_waitcnt vmcnt(1)
	v_cvt_f32_f16_e32 v15, v12
	v_cvt_f32_f16_sdwa v17, v12 dst_sel:DWORD dst_unused:UNUSED_PAD src0_sel:WORD_1
	v_cmp_ne_u16_sdwa s[2:3], v14, v9 src0_sel:BYTE_0 src1_sel:DWORD
	s_waitcnt vmcnt(0)
	v_cvt_f32_f16_e32 v14, v10
	v_and_b32_sdwa v16, v8, s9 dst_sel:DWORD dst_unused:UNUSED_PAD src0_sel:WORD_1 src1_sel:DWORD
	v_mul_f32_e32 v12, s8, v15
	v_cndmask_b32_e64 v12, v11, v12, s[2:3]
	v_mul_f32_e32 v10, s8, v17
	v_cmp_ne_u16_e64 s[2:3], 1, v16
	v_mul_f32_e32 v14, s8, v14
	s_nop 0
	v_cndmask_b32_e64 v10, v11, v10, s[2:3]
	v_cmp_ne_u16_sdwa s[2:3], v8, v9 src0_sel:BYTE_3 src1_sel:DWORD
	s_nop 1
	v_cndmask_b32_e64 v8, v11, v14, s[2:3]
.LBB7_7:
	s_or_b64 exec, exec, s[6:7]
	v_cmp_ne_u32_e64 s[2:3], 1, v1
                                        ; implicit-def: $vgpr11
                                        ; implicit-def: $vgpr14
                                        ; implicit-def: $vgpr15
                                        ; implicit-def: $vgpr9
	s_and_saveexec_b64 s[6:7], s[2:3]
	s_xor_b64 s[2:3], exec, s[6:7]
	s_cbranch_execz .LBB7_13
; %bb.8:
	v_mov_b32_e32 v11, 0xff800000
	v_mov_b32_e32 v14, 0xff800000
	;; [unrolled: 1-line block ×4, first 2 shown]
	s_and_saveexec_b64 s[6:7], s[0:1]
	s_cbranch_execz .LBB7_12
; %bb.9:
	s_mov_b32 s11, 0
	v_lshl_add_u64 v[6:7], v[6:7], 0, s[10:11]
	global_load_dword v6, v[6:7], off
	v_lshl_add_u64 v[4:5], s[10:11], 1, v[4:5]
	global_load_dword v14, v[4:5], off offset:2
	global_load_ushort v11, v[4:5], off offset:6
	v_mov_b32_e32 v7, 1
	s_movk_i32 s9, 0xff
	v_mov_b32_e32 v9, 0xc61c4000
	v_mov_b32_e32 v15, 0xc61c4000
	s_waitcnt vmcnt(2)
	v_lshrrev_b32_e32 v16, 8, v6
	v_cmp_ne_u16_sdwa s[14:15], v6, v7 src0_sel:BYTE_0 src1_sel:DWORD
	s_and_saveexec_b64 s[0:1], s[14:15]
	s_cbranch_execz .LBB7_11
; %bb.10:
	global_load_ushort v4, v[4:5], off
	s_waitcnt vmcnt(0)
	v_cvt_f32_f16_e32 v4, v4
	v_mul_f32_e32 v15, s8, v4
.LBB7_11:
	s_or_b64 exec, exec, s[0:1]
	s_waitcnt vmcnt(1)
	v_cvt_f32_f16_e32 v4, v14
	v_cvt_f32_f16_sdwa v17, v14 dst_sel:DWORD dst_unused:UNUSED_PAD src0_sel:WORD_1
	v_cmp_ne_u16_sdwa s[0:1], v16, v7 src0_sel:BYTE_0 src1_sel:DWORD
	v_and_b32_sdwa v5, v6, s9 dst_sel:DWORD dst_unused:UNUSED_PAD src0_sel:WORD_1 src1_sel:DWORD
	v_mul_f32_e32 v4, s8, v4
	v_cndmask_b32_e64 v14, v9, v4, s[0:1]
	s_waitcnt vmcnt(0)
	v_cvt_f32_f16_e32 v4, v11
	v_mul_f32_e32 v11, s8, v17
	v_cmp_ne_u16_e64 s[0:1], 1, v5
	v_mul_f32_e32 v4, s8, v4
	s_nop 0
	v_cndmask_b32_e64 v11, v9, v11, s[0:1]
	v_cmp_ne_u16_sdwa s[0:1], v6, v7 src0_sel:BYTE_3 src1_sel:DWORD
	s_nop 1
	v_cndmask_b32_e64 v9, v9, v4, s[0:1]
.LBB7_12:
	s_or_b64 exec, exec, s[6:7]
.LBB7_13:
	s_or_b64 exec, exec, s[2:3]
.LBB7_14:
	s_or_b64 exec, exec, s[4:5]
	v_mbcnt_lo_u32_b32 v6, -1, 0
	v_mbcnt_hi_u32_b32 v6, -1, v6
	v_cmp_gt_f32_e64 s[0:1], v15, v14
	v_and_b32_e32 v7, 0x60, v6
	v_add_u32_e32 v7, 32, v7
	v_cndmask_b32_e64 v4, v14, v15, s[0:1]
	v_cmp_gt_f32_e64 s[0:1], v13, v12
	v_xor_b32_e32 v16, 16, v6
	v_xor_b32_e32 v22, 1, v6
	v_cndmask_b32_e64 v5, v12, v13, s[0:1]
	v_cmp_lt_i32_e64 s[0:1], v16, v7
	s_mov_b32 s2, 0x3fb8aa3b
	s_mov_b32 s3, 0xc2ce8ed0
	v_cndmask_b32_e64 v16, v6, v16, s[0:1]
	v_lshlrev_b32_e32 v18, 2, v16
	v_xor_b32_e32 v16, 8, v6
	v_cmp_lt_i32_e64 s[0:1], v16, v7
	s_mov_b32 s4, 0x42b17218
	v_mov_b32_e32 v23, 0x7f800000
	v_cndmask_b32_e64 v16, v6, v16, s[0:1]
	v_lshlrev_b32_e32 v19, 2, v16
	v_xor_b32_e32 v16, 4, v6
	v_cmp_lt_i32_e64 s[0:1], v16, v7
	s_nop 1
	v_cndmask_b32_e64 v16, v6, v16, s[0:1]
	v_lshlrev_b32_e32 v20, 2, v16
	v_xor_b32_e32 v16, 2, v6
	v_cmp_lt_i32_e64 s[0:1], v16, v7
	s_nop 1
	v_cndmask_b32_e64 v16, v6, v16, s[0:1]
	v_cmp_gt_f32_e64 s[0:1], v5, v10
	v_lshlrev_b32_e32 v21, 2, v16
	s_nop 0
	v_cndmask_b32_e64 v5, v10, v5, s[0:1]
	v_cmp_gt_f32_e64 s[0:1], v5, v8
	s_nop 1
	v_cndmask_b32_e64 v5, v8, v5, s[0:1]
	ds_bpermute_b32 v16, v18, v5
	v_cmp_gt_f32_e64 s[0:1], v4, v11
	s_nop 1
	v_cndmask_b32_e64 v4, v11, v4, s[0:1]
	v_cmp_gt_f32_e64 s[0:1], v4, v9
	s_nop 1
	v_cndmask_b32_e64 v4, v9, v4, s[0:1]
	s_waitcnt lgkmcnt(0)
	v_cmp_lt_f32_e64 s[0:1], v5, v16
	ds_bpermute_b32 v17, v18, v4
	s_nop 0
	v_cndmask_b32_e64 v5, v5, v16, s[0:1]
	ds_bpermute_b32 v16, v19, v5
	s_waitcnt lgkmcnt(1)
	v_cmp_lt_f32_e64 s[0:1], v4, v17
	s_nop 1
	v_cndmask_b32_e64 v4, v4, v17, s[0:1]
	s_waitcnt lgkmcnt(0)
	v_cmp_lt_f32_e64 s[0:1], v5, v16
	ds_bpermute_b32 v17, v19, v4
	s_nop 0
	v_cndmask_b32_e64 v5, v5, v16, s[0:1]
	ds_bpermute_b32 v16, v20, v5
	v_cmp_lt_i32_e64 s[0:1], v22, v7
	s_nop 1
	v_cndmask_b32_e64 v6, v6, v22, s[0:1]
	s_waitcnt lgkmcnt(1)
	v_cmp_lt_f32_e64 s[0:1], v4, v17
	v_lshlrev_b32_e32 v22, 2, v6
	s_nop 0
	v_cndmask_b32_e64 v4, v4, v17, s[0:1]
	s_waitcnt lgkmcnt(0)
	v_cmp_lt_f32_e64 s[0:1], v5, v16
	ds_bpermute_b32 v7, v20, v4
	s_nop 0
	v_cndmask_b32_e64 v5, v5, v16, s[0:1]
	ds_bpermute_b32 v16, v21, v5
	s_waitcnt lgkmcnt(1)
	v_cmp_lt_f32_e64 s[0:1], v4, v7
	s_nop 1
	v_cndmask_b32_e64 v4, v4, v7, s[0:1]
	s_waitcnt lgkmcnt(0)
	v_cmp_lt_f32_e64 s[0:1], v5, v16
	ds_bpermute_b32 v6, v21, v4
	s_nop 0
	v_cndmask_b32_e64 v5, v5, v16, s[0:1]
	ds_bpermute_b32 v7, v22, v5
	s_waitcnt lgkmcnt(1)
	v_cmp_lt_f32_e64 s[0:1], v4, v6
	s_nop 1
	v_cndmask_b32_e64 v4, v4, v6, s[0:1]
	s_waitcnt lgkmcnt(0)
	v_cmp_lt_f32_e64 s[0:1], v5, v7
	ds_bpermute_b32 v6, v22, v4
	s_nop 0
	v_cndmask_b32_e64 v16, v5, v7, s[0:1]
	v_sub_f32_e32 v5, v13, v16
	v_mul_f32_e32 v7, 0x3fb8aa3b, v5
	v_fma_f32 v13, v5, s2, -v7
	v_rndne_f32_e32 v17, v7
	v_fmac_f32_e32 v13, 0x32a5705f, v5
	v_sub_f32_e32 v7, v7, v17
	v_add_f32_e32 v7, v7, v13
	v_exp_f32_e32 v7, v7
	v_cvt_i32_f32_e32 v13, v17
	s_waitcnt lgkmcnt(0)
	v_cmp_lt_f32_e64 s[0:1], v4, v6
	v_sub_f32_e32 v8, v8, v16
	s_nop 0
	v_cndmask_b32_e64 v4, v4, v6, s[0:1]
	v_ldexp_f32 v6, v7, v13
	v_sub_f32_e32 v7, v12, v16
	v_mul_f32_e32 v12, 0x3fb8aa3b, v7
	v_fma_f32 v13, v7, s2, -v12
	v_rndne_f32_e32 v17, v12
	v_fmac_f32_e32 v13, 0x32a5705f, v7
	v_sub_f32_e32 v12, v12, v17
	v_add_f32_e32 v12, v12, v13
	v_cmp_ngt_f32_e64 s[0:1], s3, v5
	v_exp_f32_e32 v12, v12
	v_cvt_i32_f32_e32 v13, v17
	v_cndmask_b32_e64 v6, 0, v6, s[0:1]
	v_cmp_nlt_f32_e64 s[0:1], s4, v5
	v_sub_f32_e32 v11, v11, v4
	v_ldexp_f32 v5, v12, v13
	v_cndmask_b32_e64 v17, v23, v6, s[0:1]
	v_sub_f32_e32 v6, v10, v16
	v_mul_f32_e32 v10, 0x3fb8aa3b, v6
	v_fma_f32 v12, v6, s2, -v10
	v_rndne_f32_e32 v13, v10
	v_fmac_f32_e32 v12, 0x32a5705f, v6
	v_sub_f32_e32 v10, v10, v13
	v_add_f32_e32 v10, v10, v12
	v_exp_f32_e32 v10, v10
	v_cvt_i32_f32_e32 v12, v13
	v_cmp_ngt_f32_e64 s[0:1], s3, v7
	v_sub_f32_e32 v9, v9, v4
	s_nop 0
	v_cndmask_b32_e64 v5, 0, v5, s[0:1]
	v_cmp_nlt_f32_e64 s[0:1], s4, v7
	v_ldexp_f32 v7, v10, v12
	v_mul_f32_e32 v10, 0x3fb8aa3b, v8
	v_fma_f32 v12, v8, s2, -v10
	v_rndne_f32_e32 v24, v10
	v_fmac_f32_e32 v12, 0x32a5705f, v8
	v_sub_f32_e32 v10, v10, v24
	v_add_f32_e32 v10, v10, v12
	v_exp_f32_e32 v10, v10
	v_cvt_i32_f32_e32 v24, v24
	v_cndmask_b32_e64 v13, v23, v5, s[0:1]
	v_cmp_ngt_f32_e64 s[0:1], s3, v6
	v_add_f32_e32 v5, v17, v13
	s_nop 0
	v_cndmask_b32_e64 v7, 0, v7, s[0:1]
	v_cmp_nlt_f32_e64 s[0:1], s4, v6
	v_ldexp_f32 v6, v10, v24
	s_nop 0
	v_cndmask_b32_e64 v12, v23, v7, s[0:1]
	v_sub_f32_e32 v7, v15, v4
	v_mul_f32_e32 v10, 0x3fb8aa3b, v7
	v_fma_f32 v15, v7, s2, -v10
	v_rndne_f32_e32 v24, v10
	v_fmac_f32_e32 v15, 0x32a5705f, v7
	v_sub_f32_e32 v10, v10, v24
	v_add_f32_e32 v10, v10, v15
	v_cmp_ngt_f32_e64 s[0:1], s3, v8
	v_exp_f32_e32 v15, v10
	v_cvt_i32_f32_e32 v24, v24
	v_cndmask_b32_e64 v6, 0, v6, s[0:1]
	v_cmp_nlt_f32_e64 s[0:1], s4, v8
	v_add_f32_e32 v5, v5, v12
	s_nop 0
	v_cndmask_b32_e64 v10, v23, v6, s[0:1]
	v_sub_f32_e32 v6, v14, v4
	v_mul_f32_e32 v8, 0x3fb8aa3b, v6
	v_add_f32_e32 v25, v5, v10
	v_ldexp_f32 v5, v15, v24
	v_fma_f32 v14, v6, s2, -v8
	v_rndne_f32_e32 v15, v8
	v_fmac_f32_e32 v14, 0x32a5705f, v6
	v_sub_f32_e32 v8, v8, v15
	v_add_f32_e32 v8, v8, v14
	v_exp_f32_e32 v14, v8
	v_cvt_i32_f32_e32 v15, v15
	v_cmp_ngt_f32_e64 s[0:1], s3, v7
	s_nop 1
	v_cndmask_b32_e64 v5, 0, v5, s[0:1]
	v_cmp_nlt_f32_e64 s[0:1], s4, v7
	v_mul_f32_e32 v7, 0x3fb8aa3b, v11
	s_nop 0
	v_cndmask_b32_e64 v8, v23, v5, s[0:1]
	v_ldexp_f32 v5, v14, v15
	v_fma_f32 v14, v11, s2, -v7
	v_rndne_f32_e32 v15, v7
	v_fmac_f32_e32 v14, 0x32a5705f, v11
	v_sub_f32_e32 v7, v7, v15
	v_add_f32_e32 v7, v7, v14
	v_exp_f32_e32 v14, v7
	v_cvt_i32_f32_e32 v15, v15
	v_cmp_ngt_f32_e64 s[0:1], s3, v6
	s_nop 1
	v_cndmask_b32_e64 v5, 0, v5, s[0:1]
	v_cmp_nlt_f32_e64 s[0:1], s4, v6
	v_ldexp_f32 v6, v14, v15
	v_mul_f32_e32 v14, 0x3fb8aa3b, v9
	v_fma_f32 v15, v9, s2, -v14
	v_rndne_f32_e32 v24, v14
	v_fmac_f32_e32 v15, 0x32a5705f, v9
	v_sub_f32_e32 v14, v14, v24
	v_add_f32_e32 v14, v14, v15
	v_exp_f32_e32 v14, v14
	v_cvt_i32_f32_e32 v15, v24
	v_cndmask_b32_e64 v7, v23, v5, s[0:1]
	v_cmp_ngt_f32_e64 s[0:1], s3, v11
	v_add_f32_e32 v5, v8, v7
	s_nop 0
	v_cndmask_b32_e64 v6, 0, v6, s[0:1]
	v_cmp_nlt_f32_e64 s[0:1], s4, v11
	s_nop 1
	v_cndmask_b32_e64 v6, v23, v6, s[0:1]
	v_add_f32_e32 v11, v5, v6
	v_ldexp_f32 v5, v14, v15
	v_cmp_ngt_f32_e64 s[0:1], s3, v9
	s_nop 1
	v_cndmask_b32_e64 v5, 0, v5, s[0:1]
	v_cmp_nlt_f32_e64 s[0:1], s4, v9
	s_nop 1
	v_cndmask_b32_e64 v5, v23, v5, s[0:1]
	v_add_f32_e32 v9, v11, v5
	ds_bpermute_b32 v11, v18, v25
	ds_bpermute_b32 v14, v18, v9
	s_waitcnt lgkmcnt(1)
	v_add_f32_e32 v11, v25, v11
	s_waitcnt lgkmcnt(0)
	v_add_f32_e32 v9, v9, v14
	ds_bpermute_b32 v14, v19, v11
	ds_bpermute_b32 v15, v19, v9
	s_waitcnt lgkmcnt(1)
	v_add_f32_e32 v11, v11, v14
	s_waitcnt lgkmcnt(0)
	;; [unrolled: 6-line block ×4, first 2 shown]
	v_add_f32_e32 v9, v9, v15
	ds_bpermute_b32 v15, v22, v14
	ds_bpermute_b32 v11, v22, v9
	s_and_saveexec_b64 s[0:1], vcc
	s_cbranch_execz .LBB7_35
; %bb.15:
	v_mov_b32_e32 v18, s12
	v_mov_b32_e32 v19, s13
	v_lshl_add_u64 v[2:3], v[2:3], 1, v[18:19]
	v_cmp_le_i32_e64 s[0:1], s10, v0
	v_cmp_gt_i32_e32 vcc, s10, v0
	s_and_saveexec_b64 s[4:5], vcc
	s_cbranch_execz .LBB7_25
; %bb.16:
	s_mov_b32 s2, 0xc61c4000
	v_cmp_neq_f32_e64 s[2:3], s2, v16
	s_waitcnt lgkmcnt(1)
	v_add_f32_e32 v0, v14, v15
	v_mov_b32_e32 v14, 0
	v_mov_b32_e32 v15, 0
	s_and_saveexec_b64 s[6:7], s[2:3]
	s_cbranch_execz .LBB7_18
; %bb.17:
	v_div_scale_f32 v15, s[8:9], v0, v0, v17
	v_rcp_f32_e32 v16, v15
	v_div_scale_f32 v18, vcc, v17, v0, v17
	v_fma_f32 v19, -v15, v16, 1.0
	v_fmac_f32_e32 v16, v19, v16
	v_mul_f32_e32 v19, v18, v16
	v_fma_f32 v20, -v15, v19, v18
	v_fmac_f32_e32 v19, v20, v16
	v_fma_f32 v15, -v15, v19, v18
	v_div_fmas_f32 v15, v15, v16, v19
	v_div_fixup_f32 v15, v15, v0, v17
	v_cvt_f16_f32_e32 v15, v15
.LBB7_18:
	s_or_b64 exec, exec, s[6:7]
	s_and_saveexec_b64 s[6:7], s[2:3]
	s_cbranch_execz .LBB7_20
; %bb.19:
	v_div_scale_f32 v14, s[8:9], v0, v0, v13
	v_rcp_f32_e32 v16, v14
	v_div_scale_f32 v17, vcc, v13, v0, v13
	v_fma_f32 v18, -v14, v16, 1.0
	v_fmac_f32_e32 v16, v18, v16
	v_mul_f32_e32 v18, v17, v16
	v_fma_f32 v19, -v14, v18, v17
	v_fmac_f32_e32 v18, v19, v16
	v_fma_f32 v14, -v14, v18, v17
	v_div_fmas_f32 v14, v14, v16, v18
	v_div_fixup_f32 v13, v14, v0, v13
	v_cvt_f16_f32_e32 v14, v13
.LBB7_20:
	s_or_b64 exec, exec, s[6:7]
	v_mov_b32_e32 v13, 0
	v_mov_b32_e32 v16, 0
	s_and_saveexec_b64 s[6:7], s[2:3]
	s_cbranch_execz .LBB7_22
; %bb.21:
	v_div_scale_f32 v16, s[8:9], v0, v0, v12
	v_rcp_f32_e32 v17, v16
	v_div_scale_f32 v18, vcc, v12, v0, v12
	v_fma_f32 v19, -v16, v17, 1.0
	v_fmac_f32_e32 v17, v19, v17
	v_mul_f32_e32 v19, v18, v17
	v_fma_f32 v20, -v16, v19, v18
	v_fmac_f32_e32 v19, v20, v17
	v_fma_f32 v16, -v16, v19, v18
	v_div_fmas_f32 v16, v16, v17, v19
	v_div_fixup_f32 v12, v16, v0, v12
	v_cvt_f16_f32_e32 v16, v12
.LBB7_22:
	s_or_b64 exec, exec, s[6:7]
	s_and_saveexec_b64 s[6:7], s[2:3]
	s_cbranch_execz .LBB7_24
; %bb.23:
	v_div_scale_f32 v12, s[2:3], v0, v0, v10
	v_rcp_f32_e32 v13, v12
	v_div_scale_f32 v17, vcc, v10, v0, v10
	v_fma_f32 v18, -v12, v13, 1.0
	v_fmac_f32_e32 v13, v18, v13
	v_mul_f32_e32 v18, v17, v13
	v_fma_f32 v19, -v12, v18, v17
	v_fmac_f32_e32 v18, v19, v13
	v_fma_f32 v12, -v12, v18, v17
	v_div_fmas_f32 v12, v12, v13, v18
	v_div_fixup_f32 v0, v12, v0, v10
	v_cvt_f16_f32_e32 v13, v0
.LBB7_24:
	s_or_b64 exec, exec, s[6:7]
	s_mov_b32 s2, 0x5040100
	v_perm_b32 v13, v13, v16, s2
	v_perm_b32 v12, v14, v15, s2
	global_store_dwordx2 v[2:3], v[12:13], off
.LBB7_25:
	s_or_b64 exec, exec, s[4:5]
	v_cmp_ne_u32_e32 vcc, 1, v1
	s_xor_b64 s[0:1], s[0:1], -1
	s_and_b64 s[0:1], vcc, s[0:1]
	s_and_b64 exec, exec, s[0:1]
	s_cbranch_execz .LBB7_35
; %bb.26:
	s_mov_b32 s0, 0xc61c4000
	v_cmp_neq_f32_e64 s[0:1], s0, v4
	s_waitcnt lgkmcnt(0)
	v_add_f32_e32 v0, v9, v11
	v_mov_b32_e32 v1, 0
	v_mov_b32_e32 v4, 0
	s_and_saveexec_b64 s[2:3], s[0:1]
	s_cbranch_execz .LBB7_28
; %bb.27:
	v_div_scale_f32 v4, s[4:5], v0, v0, v8
	v_rcp_f32_e32 v9, v4
	v_div_scale_f32 v10, vcc, v8, v0, v8
	v_fma_f32 v11, -v4, v9, 1.0
	v_fmac_f32_e32 v9, v11, v9
	v_mul_f32_e32 v11, v10, v9
	v_fma_f32 v12, -v4, v11, v10
	v_fmac_f32_e32 v11, v12, v9
	v_fma_f32 v4, -v4, v11, v10
	v_div_fmas_f32 v4, v4, v9, v11
	v_div_fixup_f32 v4, v4, v0, v8
	v_cvt_f16_f32_e32 v4, v4
.LBB7_28:
	s_or_b64 exec, exec, s[2:3]
	s_and_saveexec_b64 s[2:3], s[0:1]
	s_cbranch_execz .LBB7_30
; %bb.29:
	v_div_scale_f32 v1, s[4:5], v0, v0, v7
	v_rcp_f32_e32 v8, v1
	v_div_scale_f32 v9, vcc, v7, v0, v7
	v_fma_f32 v10, -v1, v8, 1.0
	v_fmac_f32_e32 v8, v10, v8
	v_mul_f32_e32 v10, v9, v8
	v_fma_f32 v11, -v1, v10, v9
	v_fmac_f32_e32 v10, v11, v8
	v_fma_f32 v1, -v1, v10, v9
	v_div_fmas_f32 v1, v1, v8, v10
	v_div_fixup_f32 v1, v1, v0, v7
	v_cvt_f16_f32_e32 v1, v1
.LBB7_30:
	s_or_b64 exec, exec, s[2:3]
	v_mov_b32_e32 v7, 0
	v_mov_b32_e32 v8, 0
	s_and_saveexec_b64 s[2:3], s[0:1]
	s_cbranch_execz .LBB7_32
; %bb.31:
	v_div_scale_f32 v8, s[4:5], v0, v0, v6
	v_rcp_f32_e32 v9, v8
	v_div_scale_f32 v10, vcc, v6, v0, v6
	v_fma_f32 v11, -v8, v9, 1.0
	v_fmac_f32_e32 v9, v11, v9
	v_mul_f32_e32 v11, v10, v9
	v_fma_f32 v12, -v8, v11, v10
	v_fmac_f32_e32 v11, v12, v9
	v_fma_f32 v8, -v8, v11, v10
	v_div_fmas_f32 v8, v8, v9, v11
	v_div_fixup_f32 v6, v8, v0, v6
	v_cvt_f16_f32_e32 v8, v6
.LBB7_32:
	s_or_b64 exec, exec, s[2:3]
	s_and_saveexec_b64 s[2:3], s[0:1]
	s_cbranch_execz .LBB7_34
; %bb.33:
	v_div_scale_f32 v6, s[0:1], v0, v0, v5
	v_rcp_f32_e32 v7, v6
	v_div_scale_f32 v9, vcc, v5, v0, v5
	v_fma_f32 v10, -v6, v7, 1.0
	v_fmac_f32_e32 v7, v10, v7
	v_mul_f32_e32 v10, v9, v7
	v_fma_f32 v11, -v6, v10, v9
	v_fmac_f32_e32 v10, v11, v7
	v_fma_f32 v6, -v6, v10, v9
	v_div_fmas_f32 v6, v6, v7, v10
	v_div_fixup_f32 v0, v6, v0, v5
	v_cvt_f16_f32_e32 v7, v0
.LBB7_34:
	s_or_b64 exec, exec, s[2:3]
	s_mov_b32 s11, 0
	s_mov_b32 s0, 0x5040100
	v_lshl_add_u64 v[2:3], s[10:11], 1, v[2:3]
	v_perm_b32 v5, v7, v8, s0
	v_perm_b32 v4, v1, v4, s0
	global_store_dwordx2 v[2:3], v[4:5], off
.LBB7_35:
	s_endpgm
	.section	.rodata,"a",@progbits
	.p2align	6, 0x0
	.amdhsa_kernel _Z34scaled_masked_softmax_warp_forwardI6__halfS0_fLi7EEvPT0_PKT_PKhT1_iii
		.amdhsa_group_segment_fixed_size 0
		.amdhsa_private_segment_fixed_size 0
		.amdhsa_kernarg_size 296
		.amdhsa_user_sgpr_count 2
		.amdhsa_user_sgpr_dispatch_ptr 0
		.amdhsa_user_sgpr_queue_ptr 0
		.amdhsa_user_sgpr_kernarg_segment_ptr 1
		.amdhsa_user_sgpr_dispatch_id 0
		.amdhsa_user_sgpr_kernarg_preload_length 0
		.amdhsa_user_sgpr_kernarg_preload_offset 0
		.amdhsa_user_sgpr_private_segment_size 0
		.amdhsa_uses_dynamic_stack 0
		.amdhsa_enable_private_segment 0
		.amdhsa_system_sgpr_workgroup_id_x 1
		.amdhsa_system_sgpr_workgroup_id_y 1
		.amdhsa_system_sgpr_workgroup_id_z 1
		.amdhsa_system_sgpr_workgroup_info 0
		.amdhsa_system_vgpr_workitem_id 1
		.amdhsa_next_free_vgpr 26
		.amdhsa_next_free_sgpr 18
		.amdhsa_accum_offset 28
		.amdhsa_reserve_vcc 1
		.amdhsa_float_round_mode_32 0
		.amdhsa_float_round_mode_16_64 0
		.amdhsa_float_denorm_mode_32 3
		.amdhsa_float_denorm_mode_16_64 3
		.amdhsa_dx10_clamp 1
		.amdhsa_ieee_mode 1
		.amdhsa_fp16_overflow 0
		.amdhsa_tg_split 0
		.amdhsa_exception_fp_ieee_invalid_op 0
		.amdhsa_exception_fp_denorm_src 0
		.amdhsa_exception_fp_ieee_div_zero 0
		.amdhsa_exception_fp_ieee_overflow 0
		.amdhsa_exception_fp_ieee_underflow 0
		.amdhsa_exception_fp_ieee_inexact 0
		.amdhsa_exception_int_div_zero 0
	.end_amdhsa_kernel
	.section	.text._Z34scaled_masked_softmax_warp_forwardI6__halfS0_fLi7EEvPT0_PKT_PKhT1_iii,"axG",@progbits,_Z34scaled_masked_softmax_warp_forwardI6__halfS0_fLi7EEvPT0_PKT_PKhT1_iii,comdat
.Lfunc_end7:
	.size	_Z34scaled_masked_softmax_warp_forwardI6__halfS0_fLi7EEvPT0_PKT_PKhT1_iii, .Lfunc_end7-_Z34scaled_masked_softmax_warp_forwardI6__halfS0_fLi7EEvPT0_PKT_PKhT1_iii
                                        ; -- End function
	.set _Z34scaled_masked_softmax_warp_forwardI6__halfS0_fLi7EEvPT0_PKT_PKhT1_iii.num_vgpr, 26
	.set _Z34scaled_masked_softmax_warp_forwardI6__halfS0_fLi7EEvPT0_PKT_PKhT1_iii.num_agpr, 0
	.set _Z34scaled_masked_softmax_warp_forwardI6__halfS0_fLi7EEvPT0_PKT_PKhT1_iii.numbered_sgpr, 18
	.set _Z34scaled_masked_softmax_warp_forwardI6__halfS0_fLi7EEvPT0_PKT_PKhT1_iii.num_named_barrier, 0
	.set _Z34scaled_masked_softmax_warp_forwardI6__halfS0_fLi7EEvPT0_PKT_PKhT1_iii.private_seg_size, 0
	.set _Z34scaled_masked_softmax_warp_forwardI6__halfS0_fLi7EEvPT0_PKT_PKhT1_iii.uses_vcc, 1
	.set _Z34scaled_masked_softmax_warp_forwardI6__halfS0_fLi7EEvPT0_PKT_PKhT1_iii.uses_flat_scratch, 0
	.set _Z34scaled_masked_softmax_warp_forwardI6__halfS0_fLi7EEvPT0_PKT_PKhT1_iii.has_dyn_sized_stack, 0
	.set _Z34scaled_masked_softmax_warp_forwardI6__halfS0_fLi7EEvPT0_PKT_PKhT1_iii.has_recursion, 0
	.set _Z34scaled_masked_softmax_warp_forwardI6__halfS0_fLi7EEvPT0_PKT_PKhT1_iii.has_indirect_call, 0
	.section	.AMDGPU.csdata,"",@progbits
; Kernel info:
; codeLenInByte = 3216
; TotalNumSgprs: 24
; NumVgprs: 26
; NumAgprs: 0
; TotalNumVgprs: 26
; ScratchSize: 0
; MemoryBound: 0
; FloatMode: 240
; IeeeMode: 1
; LDSByteSize: 0 bytes/workgroup (compile time only)
; SGPRBlocks: 2
; VGPRBlocks: 3
; NumSGPRsForWavesPerEU: 24
; NumVGPRsForWavesPerEU: 26
; AccumOffset: 28
; Occupancy: 8
; WaveLimiterHint : 0
; COMPUTE_PGM_RSRC2:SCRATCH_EN: 0
; COMPUTE_PGM_RSRC2:USER_SGPR: 2
; COMPUTE_PGM_RSRC2:TRAP_HANDLER: 0
; COMPUTE_PGM_RSRC2:TGID_X_EN: 1
; COMPUTE_PGM_RSRC2:TGID_Y_EN: 1
; COMPUTE_PGM_RSRC2:TGID_Z_EN: 1
; COMPUTE_PGM_RSRC2:TIDIG_COMP_CNT: 1
; COMPUTE_PGM_RSRC3_GFX90A:ACCUM_OFFSET: 6
; COMPUTE_PGM_RSRC3_GFX90A:TG_SPLIT: 0
	.section	.text._Z34scaled_masked_softmax_warp_forwardI6__halfS0_fLi8EEvPT0_PKT_PKhT1_iii,"axG",@progbits,_Z34scaled_masked_softmax_warp_forwardI6__halfS0_fLi8EEvPT0_PKT_PKhT1_iii,comdat
	.protected	_Z34scaled_masked_softmax_warp_forwardI6__halfS0_fLi8EEvPT0_PKT_PKhT1_iii ; -- Begin function _Z34scaled_masked_softmax_warp_forwardI6__halfS0_fLi8EEvPT0_PKT_PKhT1_iii
	.globl	_Z34scaled_masked_softmax_warp_forwardI6__halfS0_fLi8EEvPT0_PKT_PKhT1_iii
	.p2align	8
	.type	_Z34scaled_masked_softmax_warp_forwardI6__halfS0_fLi8EEvPT0_PKT_PKhT1_iii,@function
_Z34scaled_masked_softmax_warp_forwardI6__halfS0_fLi8EEvPT0_PKT_PKhT1_iii: ; @_Z34scaled_masked_softmax_warp_forwardI6__halfS0_fLi8EEvPT0_PKT_PKhT1_iii
; %bb.0:
	s_load_dword s5, s[0:1], 0x34
	s_load_dwordx4 s[8:11], s[0:1], 0x18
	s_load_dwordx2 s[16:17], s[0:1], 0x28
	s_waitcnt lgkmcnt(0)
	s_lshr_b32 s18, s5, 16
	s_cmp_eq_u32 s11, 1
	s_mov_b32 s5, s2
	s_cbranch_scc1 .LBB8_2
; %bb.1:
	s_mul_i32 s5, s16, s4
	s_add_i32 s5, s5, s2
.LBB8_2:
	s_load_dwordx4 s[12:15], s[0:1], 0x0
	s_load_dwordx2 s[6:7], s[0:1], 0x10
	s_mul_i32 s1, s17, s4
	s_add_i32 s1, s1, s3
	s_mul_i32 s1, s16, s1
	s_and_b32 s0, 0xffff, s18
	s_add_i32 s1, s1, s2
	s_mul_i32 s1, s1, s0
	v_bfe_u32 v4, v0, 10, 10
	v_lshlrev_b32_e32 v0, 2, v0
	v_add_u32_e32 v1, s1, v4
	v_and_b32_e32 v0, 0xffc, v0
	v_mad_u64_u32 v[2:3], s[2:3], v1, s10, v[0:1]
	v_ashrrev_i32_e32 v3, 31, v2
	v_cmp_gt_i32_e32 vcc, s9, v1
                                        ; implicit-def: $vgpr11
                                        ; implicit-def: $vgpr13
                                        ; implicit-def: $vgpr9
                                        ; implicit-def: $vgpr1
                                        ; implicit-def: $vgpr12
                                        ; implicit-def: $vgpr14
                                        ; implicit-def: $vgpr10
                                        ; implicit-def: $vgpr8
	s_and_saveexec_b64 s[2:3], vcc
	s_cbranch_execz .LBB8_12
; %bb.3:
	s_mul_i32 s0, s5, s0
	s_waitcnt lgkmcnt(0)
	v_mov_b32_e32 v6, s14
	v_mov_b32_e32 v7, s15
	v_add_u32_e32 v1, s0, v4
	v_lshl_add_u64 v[4:5], v[2:3], 1, v[6:7]
	v_mad_u64_u32 v[6:7], s[0:1], v1, s10, v[0:1]
	v_ashrrev_i32_e32 v7, 31, v6
	v_lshl_add_u64 v[6:7], s[6:7], 0, v[6:7]
	v_cmp_gt_i32_e64 s[0:1], s10, v0
	v_mov_b32_e32 v11, 0xff800000
	v_mov_b32_e32 v13, 0xff800000
	;; [unrolled: 1-line block ×4, first 2 shown]
	s_and_saveexec_b64 s[4:5], s[0:1]
	s_cbranch_execz .LBB8_7
; %bb.4:
	global_load_dword v1, v[6:7], off
	global_load_dword v12, v[4:5], off offset:2
	global_load_ushort v9, v[4:5], off offset:6
	v_mov_b32_e32 v8, 1
	s_movk_i32 s6, 0xff
	v_mov_b32_e32 v10, 0xc61c4000
	v_mov_b32_e32 v11, 0xc61c4000
	s_waitcnt vmcnt(2)
	v_lshrrev_b32_e32 v13, 8, v1
	v_cmp_ne_u16_sdwa s[14:15], v1, v8 src0_sel:BYTE_0 src1_sel:DWORD
	s_and_saveexec_b64 s[0:1], s[14:15]
	s_cbranch_execz .LBB8_6
; %bb.5:
	global_load_ushort v11, v[4:5], off
	s_waitcnt vmcnt(0)
	v_cvt_f32_f16_e32 v11, v11
	v_mul_f32_e32 v11, s8, v11
.LBB8_6:
	s_or_b64 exec, exec, s[0:1]
	s_waitcnt vmcnt(1)
	v_cvt_f32_f16_e32 v14, v12
	v_cvt_f32_f16_sdwa v12, v12 dst_sel:DWORD dst_unused:UNUSED_PAD src0_sel:WORD_1
	v_cmp_ne_u16_sdwa s[0:1], v13, v8 src0_sel:BYTE_0 src1_sel:DWORD
	v_and_b32_sdwa v15, v1, s6 dst_sel:DWORD dst_unused:UNUSED_PAD src0_sel:WORD_1 src1_sel:DWORD
	v_mul_f32_e32 v14, s8, v14
	v_cndmask_b32_e64 v13, v10, v14, s[0:1]
	s_waitcnt vmcnt(0)
	v_cvt_f32_f16_e32 v14, v9
	v_mul_f32_e32 v9, s8, v12
	v_cmp_ne_u16_e64 s[0:1], 1, v15
	v_mul_f32_e32 v12, s8, v14
	s_nop 0
	v_cndmask_b32_e64 v9, v10, v9, s[0:1]
	v_cmp_ne_u16_sdwa s[0:1], v1, v8 src0_sel:BYTE_3 src1_sel:DWORD
	s_nop 1
	v_cndmask_b32_e64 v1, v10, v12, s[0:1]
.LBB8_7:
	s_or_b64 exec, exec, s[4:5]
	v_add_u32_e32 v8, 0x80, v0
	v_cmp_gt_i32_e64 s[0:1], s10, v8
	v_mov_b32_e32 v12, 0xff800000
	v_mov_b32_e32 v14, 0xff800000
	;; [unrolled: 1-line block ×4, first 2 shown]
	s_and_saveexec_b64 s[4:5], s[0:1]
	s_cbranch_execz .LBB8_11
; %bb.8:
	global_load_dword v8, v[6:7], off offset:128
	global_load_dword v14, v[4:5], off offset:258
	global_load_ushort v10, v[4:5], off offset:262
	v_mov_b32_e32 v6, 1
	s_movk_i32 s6, 0xff
	v_mov_b32_e32 v7, 0xc61c4000
	v_mov_b32_e32 v12, 0xc61c4000
	s_waitcnt vmcnt(2)
	v_lshrrev_b32_e32 v15, 8, v8
	v_cmp_ne_u16_sdwa s[14:15], v8, v6 src0_sel:BYTE_0 src1_sel:DWORD
	s_and_saveexec_b64 s[0:1], s[14:15]
	s_cbranch_execz .LBB8_10
; %bb.9:
	global_load_ushort v4, v[4:5], off offset:256
	s_waitcnt vmcnt(0)
	v_cvt_f32_f16_e32 v4, v4
	v_mul_f32_e32 v12, s8, v4
.LBB8_10:
	s_or_b64 exec, exec, s[0:1]
	s_waitcnt vmcnt(1)
	v_cvt_f32_f16_e32 v4, v14
	v_cvt_f32_f16_sdwa v16, v14 dst_sel:DWORD dst_unused:UNUSED_PAD src0_sel:WORD_1
	v_cmp_ne_u16_sdwa s[0:1], v15, v6 src0_sel:BYTE_0 src1_sel:DWORD
	v_and_b32_sdwa v5, v8, s6 dst_sel:DWORD dst_unused:UNUSED_PAD src0_sel:WORD_1 src1_sel:DWORD
	v_mul_f32_e32 v4, s8, v4
	v_cndmask_b32_e64 v14, v7, v4, s[0:1]
	s_waitcnt vmcnt(0)
	v_cvt_f32_f16_e32 v4, v10
	v_mul_f32_e32 v10, s8, v16
	v_cmp_ne_u16_e64 s[0:1], 1, v5
	v_mul_f32_e32 v4, s8, v4
	s_nop 0
	v_cndmask_b32_e64 v10, v7, v10, s[0:1]
	v_cmp_ne_u16_sdwa s[0:1], v8, v6 src0_sel:BYTE_3 src1_sel:DWORD
	s_nop 1
	v_cndmask_b32_e64 v8, v7, v4, s[0:1]
.LBB8_11:
	s_or_b64 exec, exec, s[4:5]
.LBB8_12:
	s_or_b64 exec, exec, s[2:3]
	v_cmp_gt_f32_e64 s[0:1], v11, v13
	v_mbcnt_lo_u32_b32 v5, -1, 0
	v_mbcnt_hi_u32_b32 v5, -1, v5
	v_cndmask_b32_e64 v4, v13, v11, s[0:1]
	v_cmp_gt_f32_e64 s[0:1], v4, v9
	v_and_b32_e32 v6, 0x60, v5
	v_add_u32_e32 v6, 32, v6
	v_cndmask_b32_e64 v4, v9, v4, s[0:1]
	v_cmp_gt_f32_e64 s[0:1], v4, v1
	v_xor_b32_e32 v7, 16, v5
	s_mov_b32 s2, 0x3fb8aa3b
	v_cndmask_b32_e64 v4, v1, v4, s[0:1]
	v_cmp_gt_f32_e64 s[0:1], v4, v12
	s_mov_b32 s3, 0xc2ce8ed0
	s_mov_b32 s4, 0x42b17218
	v_cndmask_b32_e64 v4, v12, v4, s[0:1]
	v_cmp_gt_f32_e64 s[0:1], v4, v14
	v_mov_b32_e32 v21, 0x7f800000
	s_nop 0
	v_cndmask_b32_e64 v4, v14, v4, s[0:1]
	v_cmp_gt_f32_e64 s[0:1], v4, v10
	s_nop 1
	v_cndmask_b32_e64 v4, v10, v4, s[0:1]
	v_cmp_gt_f32_e64 s[0:1], v4, v8
	s_nop 1
	v_cndmask_b32_e64 v4, v8, v4, s[0:1]
	v_cmp_lt_i32_e64 s[0:1], v7, v6
	s_nop 1
	v_cndmask_b32_e64 v7, v5, v7, s[0:1]
	v_lshlrev_b32_e32 v16, 2, v7
	ds_bpermute_b32 v7, v16, v4
	s_waitcnt lgkmcnt(0)
	v_cmp_lt_f32_e64 s[0:1], v4, v7
	s_nop 1
	v_cndmask_b32_e64 v4, v4, v7, s[0:1]
	v_xor_b32_e32 v7, 8, v5
	v_cmp_lt_i32_e64 s[0:1], v7, v6
	s_nop 1
	v_cndmask_b32_e64 v7, v5, v7, s[0:1]
	v_lshlrev_b32_e32 v17, 2, v7
	ds_bpermute_b32 v7, v17, v4
	s_waitcnt lgkmcnt(0)
	v_cmp_lt_f32_e64 s[0:1], v4, v7
	s_nop 1
	v_cndmask_b32_e64 v4, v4, v7, s[0:1]
	v_xor_b32_e32 v7, 4, v5
	;; [unrolled: 10-line block ×4, first 2 shown]
	v_cmp_lt_i32_e64 s[0:1], v7, v6
	s_nop 1
	v_cndmask_b32_e64 v5, v5, v7, s[0:1]
	v_lshlrev_b32_e32 v20, 2, v5
	ds_bpermute_b32 v5, v20, v4
	s_waitcnt lgkmcnt(0)
	v_cmp_lt_f32_e64 s[0:1], v4, v5
	s_nop 1
	v_cndmask_b32_e64 v4, v4, v5, s[0:1]
	v_sub_f32_e32 v5, v11, v4
	v_mul_f32_e32 v6, 0x3fb8aa3b, v5
	v_fma_f32 v7, v5, s2, -v6
	v_rndne_f32_e32 v11, v6
	v_fmac_f32_e32 v7, 0x32a5705f, v5
	v_sub_f32_e32 v6, v6, v11
	v_add_f32_e32 v6, v6, v7
	v_exp_f32_e32 v6, v6
	v_cvt_i32_f32_e32 v7, v11
	v_cmp_ngt_f32_e64 s[0:1], s3, v5
	v_sub_f32_e32 v1, v1, v4
	v_sub_f32_e32 v10, v10, v4
	v_ldexp_f32 v6, v6, v7
	v_sub_f32_e32 v7, v13, v4
	v_mul_f32_e32 v11, 0x3fb8aa3b, v7
	v_fma_f32 v13, v7, s2, -v11
	v_rndne_f32_e32 v15, v11
	v_fmac_f32_e32 v13, 0x32a5705f, v7
	v_sub_f32_e32 v11, v11, v15
	v_add_f32_e32 v11, v11, v13
	v_exp_f32_e32 v11, v11
	v_cvt_i32_f32_e32 v13, v15
	v_cndmask_b32_e64 v6, 0, v6, s[0:1]
	v_cmp_nlt_f32_e64 s[0:1], s4, v5
	v_sub_f32_e32 v8, v8, v4
	v_ldexp_f32 v5, v11, v13
	v_cndmask_b32_e64 v15, v21, v6, s[0:1]
	v_sub_f32_e32 v6, v9, v4
	v_mul_f32_e32 v9, 0x3fb8aa3b, v6
	v_fma_f32 v11, v6, s2, -v9
	v_rndne_f32_e32 v13, v9
	v_fmac_f32_e32 v11, 0x32a5705f, v6
	v_sub_f32_e32 v9, v9, v13
	v_add_f32_e32 v9, v9, v11
	v_exp_f32_e32 v9, v9
	v_cvt_i32_f32_e32 v11, v13
	v_cmp_ngt_f32_e64 s[0:1], s3, v7
	s_nop 1
	v_cndmask_b32_e64 v5, 0, v5, s[0:1]
	v_cmp_nlt_f32_e64 s[0:1], s4, v7
	v_ldexp_f32 v7, v9, v11
	v_mul_f32_e32 v9, 0x3fb8aa3b, v1
	v_fma_f32 v11, v1, s2, -v9
	v_rndne_f32_e32 v22, v9
	v_fmac_f32_e32 v11, 0x32a5705f, v1
	v_sub_f32_e32 v9, v9, v22
	v_add_f32_e32 v9, v9, v11
	v_exp_f32_e32 v9, v9
	v_cvt_i32_f32_e32 v22, v22
	v_cndmask_b32_e64 v13, v21, v5, s[0:1]
	v_cmp_ngt_f32_e64 s[0:1], s3, v6
	v_add_f32_e32 v5, v15, v13
	s_nop 0
	v_cndmask_b32_e64 v7, 0, v7, s[0:1]
	v_cmp_nlt_f32_e64 s[0:1], s4, v6
	v_ldexp_f32 v6, v9, v22
	s_nop 0
	v_cndmask_b32_e64 v11, v21, v7, s[0:1]
	v_sub_f32_e32 v7, v12, v4
	v_mul_f32_e32 v9, 0x3fb8aa3b, v7
	v_fma_f32 v12, v7, s2, -v9
	v_rndne_f32_e32 v22, v9
	v_fmac_f32_e32 v12, 0x32a5705f, v7
	v_sub_f32_e32 v9, v9, v22
	v_add_f32_e32 v9, v9, v12
	v_exp_f32_e32 v12, v9
	v_cvt_i32_f32_e32 v22, v22
	v_cmp_ngt_f32_e64 s[0:1], s3, v1
	v_add_f32_e32 v5, v5, v11
	s_nop 0
	v_cndmask_b32_e64 v6, 0, v6, s[0:1]
	v_cmp_nlt_f32_e64 s[0:1], s4, v1
	s_nop 1
	v_cndmask_b32_e64 v9, v21, v6, s[0:1]
	v_sub_f32_e32 v6, v14, v4
	v_add_f32_e32 v1, v5, v9
	v_ldexp_f32 v5, v12, v22
	v_mul_f32_e32 v12, 0x3fb8aa3b, v6
	v_fma_f32 v14, v6, s2, -v12
	v_rndne_f32_e32 v22, v12
	v_fmac_f32_e32 v14, 0x32a5705f, v6
	v_sub_f32_e32 v12, v12, v22
	v_add_f32_e32 v12, v12, v14
	v_exp_f32_e32 v12, v12
	v_cvt_i32_f32_e32 v14, v22
	v_cmp_ngt_f32_e64 s[0:1], s3, v7
	s_nop 1
	v_cndmask_b32_e64 v5, 0, v5, s[0:1]
	v_cmp_nlt_f32_e64 s[0:1], s4, v7
	s_nop 1
	v_cndmask_b32_e64 v7, v21, v5, s[0:1]
	v_ldexp_f32 v5, v12, v14
	v_mul_f32_e32 v12, 0x3fb8aa3b, v10
	v_fma_f32 v14, v10, s2, -v12
	v_rndne_f32_e32 v22, v12
	v_fmac_f32_e32 v14, 0x32a5705f, v10
	v_sub_f32_e32 v12, v12, v22
	v_add_f32_e32 v12, v12, v14
	v_exp_f32_e32 v12, v12
	v_cvt_i32_f32_e32 v14, v22
	v_cmp_ngt_f32_e64 s[0:1], s3, v6
	v_add_f32_e32 v1, v1, v7
	s_nop 0
	v_cndmask_b32_e64 v5, 0, v5, s[0:1]
	v_cmp_nlt_f32_e64 s[0:1], s4, v6
	s_nop 1
	v_cndmask_b32_e64 v6, v21, v5, s[0:1]
	v_ldexp_f32 v5, v12, v14
	v_mul_f32_e32 v12, 0x3fb8aa3b, v8
	v_fma_f32 v14, v8, s2, -v12
	v_rndne_f32_e32 v22, v12
	v_fmac_f32_e32 v14, 0x32a5705f, v8
	v_sub_f32_e32 v12, v12, v22
	v_add_f32_e32 v12, v12, v14
	v_exp_f32_e32 v12, v12
	v_cvt_i32_f32_e32 v14, v22
	v_cmp_ngt_f32_e64 s[0:1], s3, v10
	v_add_f32_e32 v1, v1, v6
	s_nop 0
	v_cndmask_b32_e64 v5, 0, v5, s[0:1]
	v_cmp_nlt_f32_e64 s[0:1], s4, v10
	s_nop 1
	v_cndmask_b32_e64 v5, v21, v5, s[0:1]
	v_add_f32_e32 v10, v1, v5
	v_ldexp_f32 v1, v12, v14
	v_cmp_ngt_f32_e64 s[0:1], s3, v8
	s_nop 1
	v_cndmask_b32_e64 v1, 0, v1, s[0:1]
	v_cmp_nlt_f32_e64 s[0:1], s4, v8
	s_nop 1
	v_cndmask_b32_e64 v1, v21, v1, s[0:1]
	v_add_f32_e32 v8, v10, v1
	ds_bpermute_b32 v10, v16, v8
	v_cmp_gt_i32_e64 s[0:1], s10, v0
	s_and_b64 s[0:1], vcc, s[0:1]
	s_waitcnt lgkmcnt(0)
	v_add_f32_e32 v8, v8, v10
	ds_bpermute_b32 v10, v17, v8
	s_waitcnt lgkmcnt(0)
	v_add_f32_e32 v8, v8, v10
	ds_bpermute_b32 v10, v18, v8
	s_waitcnt lgkmcnt(0)
	v_add_f32_e32 v8, v8, v10
	ds_bpermute_b32 v10, v19, v8
	s_waitcnt lgkmcnt(0)
	v_add_f32_e32 v8, v8, v10
	ds_bpermute_b32 v10, v20, v8
	s_and_saveexec_b64 s[2:3], s[0:1]
	s_cbranch_execz .LBB8_31
; %bb.13:
	s_mov_b32 s0, 0xc61c4000
	v_cmp_neq_f32_e64 s[0:1], s0, v4
	s_waitcnt lgkmcnt(0)
	v_add_f32_e32 v4, v8, v10
	v_mov_b32_e32 v8, 0
	v_mov_b32_e32 v10, 0
	s_and_saveexec_b64 s[2:3], s[0:1]
	s_cbranch_execz .LBB8_15
; %bb.14:
	v_div_scale_f32 v10, s[4:5], v4, v4, v15
	v_rcp_f32_e32 v12, v10
	v_div_scale_f32 v14, vcc, v15, v4, v15
	v_fma_f32 v16, -v10, v12, 1.0
	v_fmac_f32_e32 v12, v16, v12
	v_mul_f32_e32 v16, v14, v12
	v_fma_f32 v17, -v10, v16, v14
	v_fmac_f32_e32 v16, v17, v12
	v_fma_f32 v10, -v10, v16, v14
	v_div_fmas_f32 v10, v10, v12, v16
	v_div_fixup_f32 v10, v10, v4, v15
	v_cvt_f16_f32_e32 v10, v10
.LBB8_15:
	s_or_b64 exec, exec, s[2:3]
	s_and_saveexec_b64 s[2:3], s[0:1]
	s_cbranch_execz .LBB8_17
; %bb.16:
	v_div_scale_f32 v8, s[4:5], v4, v4, v13
	v_rcp_f32_e32 v12, v8
	v_div_scale_f32 v14, vcc, v13, v4, v13
	v_fma_f32 v15, -v8, v12, 1.0
	v_fmac_f32_e32 v12, v15, v12
	v_mul_f32_e32 v15, v14, v12
	v_fma_f32 v16, -v8, v15, v14
	v_fmac_f32_e32 v15, v16, v12
	v_fma_f32 v8, -v8, v15, v14
	v_div_fmas_f32 v8, v8, v12, v15
	v_div_fixup_f32 v8, v8, v4, v13
	v_cvt_f16_f32_e32 v8, v8
.LBB8_17:
	s_or_b64 exec, exec, s[2:3]
	v_mov_b32_e32 v12, 0
	v_mov_b32_e32 v13, 0
	s_and_saveexec_b64 s[2:3], s[0:1]
	s_cbranch_execz .LBB8_19
; %bb.18:
	v_div_scale_f32 v13, s[4:5], v4, v4, v11
	v_rcp_f32_e32 v14, v13
	v_div_scale_f32 v15, vcc, v11, v4, v11
	v_fma_f32 v16, -v13, v14, 1.0
	v_fmac_f32_e32 v14, v16, v14
	v_mul_f32_e32 v16, v15, v14
	v_fma_f32 v17, -v13, v16, v15
	v_fmac_f32_e32 v16, v17, v14
	v_fma_f32 v13, -v13, v16, v15
	v_div_fmas_f32 v13, v13, v14, v16
	v_div_fixup_f32 v11, v13, v4, v11
	v_cvt_f16_f32_e32 v13, v11
.LBB8_19:
	s_or_b64 exec, exec, s[2:3]
	s_and_saveexec_b64 s[2:3], s[0:1]
	s_cbranch_execz .LBB8_21
; %bb.20:
	v_div_scale_f32 v11, s[4:5], v4, v4, v9
	v_rcp_f32_e32 v12, v11
	v_div_scale_f32 v14, vcc, v9, v4, v9
	v_fma_f32 v15, -v11, v12, 1.0
	v_fmac_f32_e32 v12, v15, v12
	v_mul_f32_e32 v15, v14, v12
	v_fma_f32 v16, -v11, v15, v14
	v_fmac_f32_e32 v15, v16, v12
	v_fma_f32 v11, -v11, v15, v14
	v_div_fmas_f32 v11, v11, v12, v15
	v_div_fixup_f32 v9, v11, v4, v9
	v_cvt_f16_f32_e32 v12, v9
.LBB8_21:
	s_or_b64 exec, exec, s[2:3]
	v_mov_b32_e32 v14, s12
	v_mov_b32_e32 v15, s13
	s_mov_b32 s2, 0x5040100
	v_add_u32_e32 v0, 0x80, v0
	v_lshl_add_u64 v[2:3], v[2:3], 1, v[14:15]
	v_perm_b32 v9, v12, v13, s2
	v_perm_b32 v8, v8, v10, s2
	v_cmp_gt_u32_e32 vcc, s10, v0
	global_store_dwordx2 v[2:3], v[8:9], off
	s_and_b64 exec, exec, vcc
	s_cbranch_execz .LBB8_31
; %bb.22:
	v_mov_b32_e32 v0, 0
	v_mov_b32_e32 v8, 0
	s_and_saveexec_b64 s[2:3], s[0:1]
	s_cbranch_execz .LBB8_24
; %bb.23:
	v_div_scale_f32 v8, s[4:5], v4, v4, v7
	v_rcp_f32_e32 v9, v8
	v_div_scale_f32 v10, vcc, v7, v4, v7
	v_fma_f32 v11, -v8, v9, 1.0
	v_fmac_f32_e32 v9, v11, v9
	v_mul_f32_e32 v11, v10, v9
	v_fma_f32 v12, -v8, v11, v10
	v_fmac_f32_e32 v11, v12, v9
	v_fma_f32 v8, -v8, v11, v10
	v_div_fmas_f32 v8, v8, v9, v11
	v_div_fixup_f32 v7, v8, v4, v7
	v_cvt_f16_f32_e32 v8, v7
.LBB8_24:
	s_or_b64 exec, exec, s[2:3]
	s_and_saveexec_b64 s[2:3], s[0:1]
	s_cbranch_execz .LBB8_26
; %bb.25:
	v_div_scale_f32 v0, s[4:5], v4, v4, v6
	v_rcp_f32_e32 v7, v0
	v_div_scale_f32 v9, vcc, v6, v4, v6
	v_fma_f32 v10, -v0, v7, 1.0
	v_fmac_f32_e32 v7, v10, v7
	v_mul_f32_e32 v10, v9, v7
	v_fma_f32 v11, -v0, v10, v9
	v_fmac_f32_e32 v10, v11, v7
	v_fma_f32 v0, -v0, v10, v9
	v_div_fmas_f32 v0, v0, v7, v10
	v_div_fixup_f32 v0, v0, v4, v6
	v_cvt_f16_f32_e32 v0, v0
.LBB8_26:
	s_or_b64 exec, exec, s[2:3]
	v_mov_b32_e32 v6, 0
	v_mov_b32_e32 v7, 0
	s_and_saveexec_b64 s[2:3], s[0:1]
	s_cbranch_execz .LBB8_28
; %bb.27:
	v_div_scale_f32 v7, s[4:5], v4, v4, v5
	v_rcp_f32_e32 v9, v7
	v_div_scale_f32 v10, vcc, v5, v4, v5
	v_fma_f32 v11, -v7, v9, 1.0
	v_fmac_f32_e32 v9, v11, v9
	v_mul_f32_e32 v11, v10, v9
	v_fma_f32 v12, -v7, v11, v10
	v_fmac_f32_e32 v11, v12, v9
	v_fma_f32 v7, -v7, v11, v10
	v_div_fmas_f32 v7, v7, v9, v11
	v_div_fixup_f32 v5, v7, v4, v5
	v_cvt_f16_f32_e32 v7, v5
.LBB8_28:
	s_or_b64 exec, exec, s[2:3]
	s_and_saveexec_b64 s[2:3], s[0:1]
	s_cbranch_execz .LBB8_30
; %bb.29:
	v_div_scale_f32 v5, s[0:1], v4, v4, v1
	v_rcp_f32_e32 v6, v5
	v_div_scale_f32 v9, vcc, v1, v4, v1
	v_fma_f32 v10, -v5, v6, 1.0
	v_fmac_f32_e32 v6, v10, v6
	v_mul_f32_e32 v10, v9, v6
	v_fma_f32 v11, -v5, v10, v9
	v_fmac_f32_e32 v10, v11, v6
	v_fma_f32 v5, -v5, v10, v9
	v_div_fmas_f32 v5, v5, v6, v10
	v_div_fixup_f32 v1, v5, v4, v1
	v_cvt_f16_f32_e32 v6, v1
.LBB8_30:
	s_or_b64 exec, exec, s[2:3]
	s_mov_b32 s0, 0x5040100
	v_perm_b32 v1, v6, v7, s0
	v_perm_b32 v0, v0, v8, s0
	global_store_dwordx2 v[2:3], v[0:1], off offset:256
.LBB8_31:
	s_endpgm
	.section	.rodata,"a",@progbits
	.p2align	6, 0x0
	.amdhsa_kernel _Z34scaled_masked_softmax_warp_forwardI6__halfS0_fLi8EEvPT0_PKT_PKhT1_iii
		.amdhsa_group_segment_fixed_size 0
		.amdhsa_private_segment_fixed_size 0
		.amdhsa_kernarg_size 296
		.amdhsa_user_sgpr_count 2
		.amdhsa_user_sgpr_dispatch_ptr 0
		.amdhsa_user_sgpr_queue_ptr 0
		.amdhsa_user_sgpr_kernarg_segment_ptr 1
		.amdhsa_user_sgpr_dispatch_id 0
		.amdhsa_user_sgpr_kernarg_preload_length 0
		.amdhsa_user_sgpr_kernarg_preload_offset 0
		.amdhsa_user_sgpr_private_segment_size 0
		.amdhsa_uses_dynamic_stack 0
		.amdhsa_enable_private_segment 0
		.amdhsa_system_sgpr_workgroup_id_x 1
		.amdhsa_system_sgpr_workgroup_id_y 1
		.amdhsa_system_sgpr_workgroup_id_z 1
		.amdhsa_system_sgpr_workgroup_info 0
		.amdhsa_system_vgpr_workitem_id 1
		.amdhsa_next_free_vgpr 23
		.amdhsa_next_free_sgpr 19
		.amdhsa_accum_offset 24
		.amdhsa_reserve_vcc 1
		.amdhsa_float_round_mode_32 0
		.amdhsa_float_round_mode_16_64 0
		.amdhsa_float_denorm_mode_32 3
		.amdhsa_float_denorm_mode_16_64 3
		.amdhsa_dx10_clamp 1
		.amdhsa_ieee_mode 1
		.amdhsa_fp16_overflow 0
		.amdhsa_tg_split 0
		.amdhsa_exception_fp_ieee_invalid_op 0
		.amdhsa_exception_fp_denorm_src 0
		.amdhsa_exception_fp_ieee_div_zero 0
		.amdhsa_exception_fp_ieee_overflow 0
		.amdhsa_exception_fp_ieee_underflow 0
		.amdhsa_exception_fp_ieee_inexact 0
		.amdhsa_exception_int_div_zero 0
	.end_amdhsa_kernel
	.section	.text._Z34scaled_masked_softmax_warp_forwardI6__halfS0_fLi8EEvPT0_PKT_PKhT1_iii,"axG",@progbits,_Z34scaled_masked_softmax_warp_forwardI6__halfS0_fLi8EEvPT0_PKT_PKhT1_iii,comdat
.Lfunc_end8:
	.size	_Z34scaled_masked_softmax_warp_forwardI6__halfS0_fLi8EEvPT0_PKT_PKhT1_iii, .Lfunc_end8-_Z34scaled_masked_softmax_warp_forwardI6__halfS0_fLi8EEvPT0_PKT_PKhT1_iii
                                        ; -- End function
	.set _Z34scaled_masked_softmax_warp_forwardI6__halfS0_fLi8EEvPT0_PKT_PKhT1_iii.num_vgpr, 23
	.set _Z34scaled_masked_softmax_warp_forwardI6__halfS0_fLi8EEvPT0_PKT_PKhT1_iii.num_agpr, 0
	.set _Z34scaled_masked_softmax_warp_forwardI6__halfS0_fLi8EEvPT0_PKT_PKhT1_iii.numbered_sgpr, 19
	.set _Z34scaled_masked_softmax_warp_forwardI6__halfS0_fLi8EEvPT0_PKT_PKhT1_iii.num_named_barrier, 0
	.set _Z34scaled_masked_softmax_warp_forwardI6__halfS0_fLi8EEvPT0_PKT_PKhT1_iii.private_seg_size, 0
	.set _Z34scaled_masked_softmax_warp_forwardI6__halfS0_fLi8EEvPT0_PKT_PKhT1_iii.uses_vcc, 1
	.set _Z34scaled_masked_softmax_warp_forwardI6__halfS0_fLi8EEvPT0_PKT_PKhT1_iii.uses_flat_scratch, 0
	.set _Z34scaled_masked_softmax_warp_forwardI6__halfS0_fLi8EEvPT0_PKT_PKhT1_iii.has_dyn_sized_stack, 0
	.set _Z34scaled_masked_softmax_warp_forwardI6__halfS0_fLi8EEvPT0_PKT_PKhT1_iii.has_recursion, 0
	.set _Z34scaled_masked_softmax_warp_forwardI6__halfS0_fLi8EEvPT0_PKT_PKhT1_iii.has_indirect_call, 0
	.section	.AMDGPU.csdata,"",@progbits
; Kernel info:
; codeLenInByte = 2924
; TotalNumSgprs: 25
; NumVgprs: 23
; NumAgprs: 0
; TotalNumVgprs: 23
; ScratchSize: 0
; MemoryBound: 0
; FloatMode: 240
; IeeeMode: 1
; LDSByteSize: 0 bytes/workgroup (compile time only)
; SGPRBlocks: 3
; VGPRBlocks: 2
; NumSGPRsForWavesPerEU: 25
; NumVGPRsForWavesPerEU: 23
; AccumOffset: 24
; Occupancy: 8
; WaveLimiterHint : 0
; COMPUTE_PGM_RSRC2:SCRATCH_EN: 0
; COMPUTE_PGM_RSRC2:USER_SGPR: 2
; COMPUTE_PGM_RSRC2:TRAP_HANDLER: 0
; COMPUTE_PGM_RSRC2:TGID_X_EN: 1
; COMPUTE_PGM_RSRC2:TGID_Y_EN: 1
; COMPUTE_PGM_RSRC2:TGID_Z_EN: 1
; COMPUTE_PGM_RSRC2:TIDIG_COMP_CNT: 1
; COMPUTE_PGM_RSRC3_GFX90A:ACCUM_OFFSET: 5
; COMPUTE_PGM_RSRC3_GFX90A:TG_SPLIT: 0
	.section	.text._Z34scaled_masked_softmax_warp_forwardI6__halfS0_fLi9EEvPT0_PKT_PKhT1_iii,"axG",@progbits,_Z34scaled_masked_softmax_warp_forwardI6__halfS0_fLi9EEvPT0_PKT_PKhT1_iii,comdat
	.protected	_Z34scaled_masked_softmax_warp_forwardI6__halfS0_fLi9EEvPT0_PKT_PKhT1_iii ; -- Begin function _Z34scaled_masked_softmax_warp_forwardI6__halfS0_fLi9EEvPT0_PKT_PKhT1_iii
	.globl	_Z34scaled_masked_softmax_warp_forwardI6__halfS0_fLi9EEvPT0_PKT_PKhT1_iii
	.p2align	8
	.type	_Z34scaled_masked_softmax_warp_forwardI6__halfS0_fLi9EEvPT0_PKT_PKhT1_iii,@function
_Z34scaled_masked_softmax_warp_forwardI6__halfS0_fLi9EEvPT0_PKT_PKhT1_iii: ; @_Z34scaled_masked_softmax_warp_forwardI6__halfS0_fLi9EEvPT0_PKT_PKhT1_iii
; %bb.0:
	s_load_dword s5, s[0:1], 0x34
	s_load_dwordx4 s[8:11], s[0:1], 0x18
	s_load_dwordx2 s[16:17], s[0:1], 0x28
	s_waitcnt lgkmcnt(0)
	s_lshr_b32 s18, s5, 16
	s_cmp_eq_u32 s11, 1
	s_mov_b32 s5, s2
	s_cbranch_scc1 .LBB9_2
; %bb.1:
	s_mul_i32 s5, s16, s4
	s_add_i32 s5, s5, s2
.LBB9_2:
	s_load_dwordx4 s[12:15], s[0:1], 0x0
	s_load_dwordx2 s[6:7], s[0:1], 0x10
	s_mul_i32 s1, s17, s4
	s_add_i32 s1, s1, s3
	s_mul_i32 s1, s16, s1
	s_and_b32 s0, 0xffff, s18
	s_add_i32 s1, s1, s2
	s_mul_i32 s1, s1, s0
	v_bfe_u32 v4, v0, 10, 10
	v_lshlrev_b32_e32 v0, 2, v0
	v_add_u32_e32 v1, s1, v4
	v_and_b32_e32 v0, 0xffc, v0
	v_mad_u64_u32 v[2:3], s[2:3], v1, s10, v[0:1]
	v_ashrrev_i32_e32 v3, 31, v2
	v_cmp_gt_i32_e32 vcc, s9, v1
                                        ; implicit-def: $vgpr13
                                        ; implicit-def: $vgpr19
                                        ; implicit-def: $vgpr10
                                        ; implicit-def: $vgpr1
                                        ; implicit-def: $vgpr16
                                        ; implicit-def: $vgpr20
                                        ; implicit-def: $vgpr11
                                        ; implicit-def: $vgpr8
                                        ; implicit-def: $vgpr17
                                        ; implicit-def: $vgpr21
                                        ; implicit-def: $vgpr14
                                        ; implicit-def: $vgpr9
                                        ; implicit-def: $vgpr18
                                        ; implicit-def: $vgpr22
                                        ; implicit-def: $vgpr15
                                        ; implicit-def: $vgpr12
	s_and_saveexec_b64 s[2:3], vcc
	s_cbranch_execz .LBB9_20
; %bb.3:
	s_mul_i32 s0, s5, s0
	s_waitcnt lgkmcnt(0)
	v_mov_b32_e32 v6, s14
	v_mov_b32_e32 v7, s15
	v_add_u32_e32 v1, s0, v4
	v_lshl_add_u64 v[4:5], v[2:3], 1, v[6:7]
	v_mad_u64_u32 v[6:7], s[0:1], v1, s10, v[0:1]
	v_ashrrev_i32_e32 v7, 31, v6
	v_lshl_add_u64 v[6:7], s[6:7], 0, v[6:7]
	v_cmp_gt_i32_e64 s[0:1], s10, v0
	v_mov_b32_e32 v13, 0xff800000
	v_mov_b32_e32 v19, 0xff800000
	;; [unrolled: 1-line block ×4, first 2 shown]
	s_and_saveexec_b64 s[4:5], s[0:1]
	s_cbranch_execz .LBB9_7
; %bb.4:
	global_load_dword v1, v[6:7], off
	global_load_dword v11, v[4:5], off offset:2
	global_load_ushort v10, v[4:5], off offset:6
	v_mov_b32_e32 v8, 1
	s_movk_i32 s6, 0xff
	v_mov_b32_e32 v9, 0xc61c4000
	v_mov_b32_e32 v13, 0xc61c4000
	s_waitcnt vmcnt(2)
	v_lshrrev_b32_e32 v12, 8, v1
	v_cmp_ne_u16_sdwa s[14:15], v1, v8 src0_sel:BYTE_0 src1_sel:DWORD
	s_and_saveexec_b64 s[0:1], s[14:15]
	s_cbranch_execz .LBB9_6
; %bb.5:
	global_load_ushort v13, v[4:5], off
	s_waitcnt vmcnt(0)
	v_cvt_f32_f16_e32 v13, v13
	v_mul_f32_e32 v13, s8, v13
.LBB9_6:
	s_or_b64 exec, exec, s[0:1]
	s_waitcnt vmcnt(1)
	v_cvt_f32_f16_e32 v14, v11
	v_cvt_f32_f16_sdwa v11, v11 dst_sel:DWORD dst_unused:UNUSED_PAD src0_sel:WORD_1
	v_cmp_ne_u16_sdwa s[0:1], v12, v8 src0_sel:BYTE_0 src1_sel:DWORD
	s_waitcnt vmcnt(0)
	v_cvt_f32_f16_e32 v12, v10
	v_and_b32_sdwa v15, v1, s6 dst_sel:DWORD dst_unused:UNUSED_PAD src0_sel:WORD_1 src1_sel:DWORD
	v_mul_f32_e32 v14, s8, v14
	v_cndmask_b32_e64 v19, v9, v14, s[0:1]
	v_mul_f32_e32 v10, s8, v11
	v_cmp_ne_u16_e64 s[0:1], 1, v15
	v_mul_f32_e32 v11, s8, v12
	s_nop 0
	v_cndmask_b32_e64 v10, v9, v10, s[0:1]
	v_cmp_ne_u16_sdwa s[0:1], v1, v8 src0_sel:BYTE_3 src1_sel:DWORD
	s_nop 1
	v_cndmask_b32_e64 v1, v9, v11, s[0:1]
.LBB9_7:
	s_or_b64 exec, exec, s[4:5]
	v_add_u32_e32 v8, 0x80, v0
	v_cmp_gt_i32_e64 s[0:1], s10, v8
	v_mov_b32_e32 v16, 0xff800000
	v_mov_b32_e32 v20, 0xff800000
	;; [unrolled: 1-line block ×4, first 2 shown]
	s_and_saveexec_b64 s[4:5], s[0:1]
	s_cbranch_execz .LBB9_11
; %bb.8:
	global_load_dword v8, v[6:7], off offset:128
	global_load_dword v14, v[4:5], off offset:258
	global_load_ushort v11, v[4:5], off offset:262
	v_mov_b32_e32 v9, 1
	s_movk_i32 s6, 0xff
	v_mov_b32_e32 v12, 0xc61c4000
	v_mov_b32_e32 v16, 0xc61c4000
	s_waitcnt vmcnt(2)
	v_lshrrev_b32_e32 v15, 8, v8
	v_cmp_ne_u16_sdwa s[14:15], v8, v9 src0_sel:BYTE_0 src1_sel:DWORD
	s_and_saveexec_b64 s[0:1], s[14:15]
	s_cbranch_execz .LBB9_10
; %bb.9:
	global_load_ushort v16, v[4:5], off offset:256
	s_waitcnt vmcnt(0)
	v_cvt_f32_f16_e32 v16, v16
	v_mul_f32_e32 v16, s8, v16
.LBB9_10:
	s_or_b64 exec, exec, s[0:1]
	s_waitcnt vmcnt(1)
	v_cvt_f32_f16_e32 v17, v14
	v_cvt_f32_f16_sdwa v14, v14 dst_sel:DWORD dst_unused:UNUSED_PAD src0_sel:WORD_1
	v_cmp_ne_u16_sdwa s[0:1], v15, v9 src0_sel:BYTE_0 src1_sel:DWORD
	s_waitcnt vmcnt(0)
	v_cvt_f32_f16_e32 v15, v11
	v_and_b32_sdwa v18, v8, s6 dst_sel:DWORD dst_unused:UNUSED_PAD src0_sel:WORD_1 src1_sel:DWORD
	v_mul_f32_e32 v17, s8, v17
	v_cndmask_b32_e64 v20, v12, v17, s[0:1]
	v_mul_f32_e32 v11, s8, v14
	v_cmp_ne_u16_e64 s[0:1], 1, v18
	v_mul_f32_e32 v14, s8, v15
	s_nop 0
	v_cndmask_b32_e64 v11, v12, v11, s[0:1]
	v_cmp_ne_u16_sdwa s[0:1], v8, v9 src0_sel:BYTE_3 src1_sel:DWORD
	s_nop 1
	v_cndmask_b32_e64 v8, v12, v14, s[0:1]
.LBB9_11:
	s_or_b64 exec, exec, s[4:5]
	v_add_u32_e32 v9, 0x100, v0
	v_cmp_gt_i32_e64 s[0:1], s10, v9
	v_mov_b32_e32 v17, 0xff800000
	v_mov_b32_e32 v21, 0xff800000
	;; [unrolled: 1-line block ×4, first 2 shown]
	s_and_saveexec_b64 s[4:5], s[0:1]
	s_cbranch_execz .LBB9_15
; %bb.12:
	global_load_dword v9, v[6:7], off offset:256
	global_load_dword v18, v[4:5], off offset:514
	global_load_ushort v14, v[4:5], off offset:518
	v_mov_b32_e32 v12, 1
	s_movk_i32 s6, 0xff
	v_mov_b32_e32 v15, 0xc61c4000
	v_mov_b32_e32 v17, 0xc61c4000
	s_waitcnt vmcnt(2)
	v_lshrrev_b32_e32 v21, 8, v9
	v_cmp_ne_u16_sdwa s[14:15], v9, v12 src0_sel:BYTE_0 src1_sel:DWORD
	s_and_saveexec_b64 s[0:1], s[14:15]
	s_cbranch_execz .LBB9_14
; %bb.13:
	global_load_ushort v17, v[4:5], off offset:512
	s_waitcnt vmcnt(0)
	v_cvt_f32_f16_e32 v17, v17
	v_mul_f32_e32 v17, s8, v17
.LBB9_14:
	s_or_b64 exec, exec, s[0:1]
	s_waitcnt vmcnt(1)
	v_cvt_f32_f16_e32 v22, v18
	v_cvt_f32_f16_sdwa v18, v18 dst_sel:DWORD dst_unused:UNUSED_PAD src0_sel:WORD_1
	v_cmp_ne_u16_sdwa s[0:1], v21, v12 src0_sel:BYTE_0 src1_sel:DWORD
	v_and_b32_sdwa v23, v9, s6 dst_sel:DWORD dst_unused:UNUSED_PAD src0_sel:WORD_1 src1_sel:DWORD
	v_mul_f32_e32 v22, s8, v22
	v_cndmask_b32_e64 v21, v15, v22, s[0:1]
	s_waitcnt vmcnt(0)
	v_cvt_f32_f16_e32 v22, v14
	v_mul_f32_e32 v14, s8, v18
	v_cmp_ne_u16_e64 s[0:1], 1, v23
	v_mul_f32_e32 v18, s8, v22
	s_nop 0
	v_cndmask_b32_e64 v14, v15, v14, s[0:1]
	v_cmp_ne_u16_sdwa s[0:1], v9, v12 src0_sel:BYTE_3 src1_sel:DWORD
	s_nop 1
	v_cndmask_b32_e64 v9, v15, v18, s[0:1]
.LBB9_15:
	s_or_b64 exec, exec, s[4:5]
	v_add_u32_e32 v12, 0x180, v0
	v_cmp_gt_i32_e64 s[0:1], s10, v12
	v_mov_b32_e32 v18, 0xff800000
	v_mov_b32_e32 v22, 0xff800000
	;; [unrolled: 1-line block ×4, first 2 shown]
	s_and_saveexec_b64 s[4:5], s[0:1]
	s_cbranch_execz .LBB9_19
; %bb.16:
	global_load_dword v12, v[6:7], off offset:384
	global_load_dword v22, v[4:5], off offset:770
	global_load_ushort v15, v[4:5], off offset:774
	v_mov_b32_e32 v6, 1
	s_movk_i32 s6, 0xff
	v_mov_b32_e32 v7, 0xc61c4000
	v_mov_b32_e32 v18, 0xc61c4000
	s_waitcnt vmcnt(2)
	v_lshrrev_b32_e32 v23, 8, v12
	v_cmp_ne_u16_sdwa s[14:15], v12, v6 src0_sel:BYTE_0 src1_sel:DWORD
	s_and_saveexec_b64 s[0:1], s[14:15]
	s_cbranch_execz .LBB9_18
; %bb.17:
	global_load_ushort v4, v[4:5], off offset:768
	s_waitcnt vmcnt(0)
	v_cvt_f32_f16_e32 v4, v4
	v_mul_f32_e32 v18, s8, v4
.LBB9_18:
	s_or_b64 exec, exec, s[0:1]
	s_waitcnt vmcnt(1)
	v_cvt_f32_f16_e32 v4, v22
	v_cvt_f32_f16_sdwa v24, v22 dst_sel:DWORD dst_unused:UNUSED_PAD src0_sel:WORD_1
	v_cmp_ne_u16_sdwa s[0:1], v23, v6 src0_sel:BYTE_0 src1_sel:DWORD
	v_and_b32_sdwa v5, v12, s6 dst_sel:DWORD dst_unused:UNUSED_PAD src0_sel:WORD_1 src1_sel:DWORD
	v_mul_f32_e32 v4, s8, v4
	v_cndmask_b32_e64 v22, v7, v4, s[0:1]
	s_waitcnt vmcnt(0)
	v_cvt_f32_f16_e32 v4, v15
	v_mul_f32_e32 v15, s8, v24
	v_cmp_ne_u16_e64 s[0:1], 1, v5
	v_mul_f32_e32 v4, s8, v4
	s_nop 0
	v_cndmask_b32_e64 v15, v7, v15, s[0:1]
	v_cmp_ne_u16_sdwa s[0:1], v12, v6 src0_sel:BYTE_3 src1_sel:DWORD
	s_nop 1
	v_cndmask_b32_e64 v12, v7, v4, s[0:1]
.LBB9_19:
	s_or_b64 exec, exec, s[4:5]
.LBB9_20:
	s_or_b64 exec, exec, s[2:3]
	v_cmp_gt_f32_e64 s[0:1], v13, v19
	s_mov_b32 s3, 0x3fb8aa3b
	s_mov_b32 s2, 0xc2ce8ed0
	v_cndmask_b32_e64 v4, v19, v13, s[0:1]
	v_cmp_gt_f32_e64 s[0:1], v4, v10
	s_mov_b32 s4, 0x42b17218
	v_mov_b32_e32 v32, 0x7f800000
	v_cndmask_b32_e64 v4, v10, v4, s[0:1]
	v_cmp_gt_f32_e64 s[0:1], v4, v1
	s_nop 1
	v_cndmask_b32_e64 v4, v1, v4, s[0:1]
	v_cmp_gt_f32_e64 s[0:1], v4, v16
	s_nop 1
	;; [unrolled: 3-line block ×13, first 2 shown]
	v_cndmask_b32_e64 v5, v12, v4, s[0:1]
	v_mbcnt_lo_u32_b32 v4, -1, 0
	v_mbcnt_hi_u32_b32 v6, -1, v4
	v_and_b32_e32 v4, 0x60, v6
	v_add_u32_e32 v7, 32, v4
	v_xor_b32_e32 v4, 16, v6
	v_cmp_lt_i32_e64 s[0:1], v4, v7
	s_nop 1
	v_cndmask_b32_e64 v4, v6, v4, s[0:1]
	v_lshlrev_b32_e32 v4, 2, v4
	ds_bpermute_b32 v23, v4, v5
	s_waitcnt lgkmcnt(0)
	v_cmp_lt_f32_e64 s[0:1], v5, v23
	s_nop 1
	v_cndmask_b32_e64 v5, v5, v23, s[0:1]
	v_xor_b32_e32 v23, 8, v6
	v_cmp_lt_i32_e64 s[0:1], v23, v7
	s_nop 1
	v_cndmask_b32_e64 v23, v6, v23, s[0:1]
	v_lshlrev_b32_e32 v25, 2, v23
	ds_bpermute_b32 v23, v25, v5
	s_waitcnt lgkmcnt(0)
	v_cmp_lt_f32_e64 s[0:1], v5, v23
	s_nop 1
	v_cndmask_b32_e64 v5, v5, v23, s[0:1]
	;; [unrolled: 10-line block ×5, first 2 shown]
	v_sub_f32_e32 v5, v13, v28
	v_mul_f32_e32 v6, 0x3fb8aa3b, v5
	v_fma_f32 v7, v5, s3, -v6
	v_rndne_f32_e32 v13, v6
	v_fmac_f32_e32 v7, 0x32a5705f, v5
	v_sub_f32_e32 v6, v6, v13
	v_add_f32_e32 v6, v6, v7
	v_exp_f32_e32 v6, v6
	v_cvt_i32_f32_e32 v7, v13
	v_cmp_ngt_f32_e64 s[0:1], s2, v5
	v_sub_f32_e32 v1, v1, v28
	v_sub_f32_e32 v12, v12, v28
	v_ldexp_f32 v6, v6, v7
	v_sub_f32_e32 v7, v19, v28
	v_mul_f32_e32 v13, 0x3fb8aa3b, v7
	v_fma_f32 v19, v7, s3, -v13
	v_rndne_f32_e32 v23, v13
	v_fmac_f32_e32 v19, 0x32a5705f, v7
	v_sub_f32_e32 v13, v13, v23
	v_add_f32_e32 v13, v13, v19
	v_exp_f32_e32 v13, v13
	v_cvt_i32_f32_e32 v19, v23
	v_cndmask_b32_e64 v6, 0, v6, s[0:1]
	v_cmp_nlt_f32_e64 s[0:1], s4, v5
	v_ldexp_f32 v5, v13, v19
	s_nop 0
	v_cndmask_b32_e64 v30, v32, v6, s[0:1]
	v_sub_f32_e32 v6, v10, v28
	v_mul_f32_e32 v10, 0x3fb8aa3b, v6
	v_fma_f32 v13, v6, s3, -v10
	v_rndne_f32_e32 v19, v10
	v_fmac_f32_e32 v13, 0x32a5705f, v6
	v_sub_f32_e32 v10, v10, v19
	v_add_f32_e32 v10, v10, v13
	v_exp_f32_e32 v10, v10
	v_cvt_i32_f32_e32 v13, v19
	v_cmp_ngt_f32_e64 s[0:1], s2, v7
	s_nop 1
	v_cndmask_b32_e64 v5, 0, v5, s[0:1]
	v_cmp_nlt_f32_e64 s[0:1], s4, v7
	v_ldexp_f32 v7, v10, v13
	v_mul_f32_e32 v10, 0x3fb8aa3b, v1
	v_fma_f32 v13, v1, s3, -v10
	v_rndne_f32_e32 v19, v10
	v_fmac_f32_e32 v13, 0x32a5705f, v1
	v_sub_f32_e32 v10, v10, v19
	v_add_f32_e32 v10, v10, v13
	v_exp_f32_e32 v10, v10
	v_cvt_i32_f32_e32 v13, v19
	v_cndmask_b32_e64 v26, v32, v5, s[0:1]
	v_cmp_ngt_f32_e64 s[0:1], s2, v6
	v_add_f32_e32 v5, v30, v26
	s_nop 0
	v_cndmask_b32_e64 v7, 0, v7, s[0:1]
	v_cmp_nlt_f32_e64 s[0:1], s4, v6
	v_ldexp_f32 v6, v10, v13
	s_nop 0
	v_cndmask_b32_e64 v24, v32, v7, s[0:1]
	v_sub_f32_e32 v7, v16, v28
	v_mul_f32_e32 v10, 0x3fb8aa3b, v7
	v_fma_f32 v13, v7, s3, -v10
	v_rndne_f32_e32 v16, v10
	v_fmac_f32_e32 v13, 0x32a5705f, v7
	v_sub_f32_e32 v10, v10, v16
	v_add_f32_e32 v10, v10, v13
	v_exp_f32_e32 v10, v10
	v_cvt_i32_f32_e32 v13, v16
	v_cmp_ngt_f32_e64 s[0:1], s2, v1
	v_add_f32_e32 v5, v5, v24
	s_nop 0
	v_cndmask_b32_e64 v6, 0, v6, s[0:1]
	v_cmp_nlt_f32_e64 s[0:1], s4, v1
	s_nop 1
	v_cndmask_b32_e64 v23, v32, v6, s[0:1]
	v_sub_f32_e32 v6, v20, v28
	v_add_f32_e32 v1, v5, v23
	v_ldexp_f32 v5, v10, v13
	v_mul_f32_e32 v10, 0x3fb8aa3b, v6
	v_fma_f32 v13, v6, s3, -v10
	v_rndne_f32_e32 v16, v10
	v_fmac_f32_e32 v13, 0x32a5705f, v6
	v_sub_f32_e32 v10, v10, v16
	v_add_f32_e32 v10, v10, v13
	v_exp_f32_e32 v10, v10
	v_cvt_i32_f32_e32 v13, v16
	v_cmp_ngt_f32_e64 s[0:1], s2, v7
	s_nop 1
	v_cndmask_b32_e64 v5, 0, v5, s[0:1]
	v_cmp_nlt_f32_e64 s[0:1], s4, v7
	v_sub_f32_e32 v7, v11, v28
	s_nop 0
	v_cndmask_b32_e64 v20, v32, v5, s[0:1]
	v_ldexp_f32 v5, v10, v13
	v_mul_f32_e32 v10, 0x3fb8aa3b, v7
	v_fma_f32 v11, v7, s3, -v10
	v_rndne_f32_e32 v13, v10
	v_fmac_f32_e32 v11, 0x32a5705f, v7
	v_sub_f32_e32 v10, v10, v13
	v_add_f32_e32 v10, v10, v11
	v_exp_f32_e32 v10, v10
	v_cvt_i32_f32_e32 v11, v13
	v_cmp_ngt_f32_e64 s[0:1], s2, v6
	v_add_f32_e32 v1, v1, v20
	s_nop 0
	v_cndmask_b32_e64 v5, 0, v5, s[0:1]
	v_cmp_nlt_f32_e64 s[0:1], s4, v6
	v_sub_f32_e32 v6, v8, v28
	v_mul_f32_e32 v8, 0x3fb8aa3b, v6
	v_cndmask_b32_e64 v19, v32, v5, s[0:1]
	v_ldexp_f32 v5, v10, v11
	v_fma_f32 v10, v6, s3, -v8
	v_rndne_f32_e32 v11, v8
	v_fmac_f32_e32 v10, 0x32a5705f, v6
	v_sub_f32_e32 v8, v8, v11
	v_add_f32_e32 v8, v8, v10
	v_exp_f32_e32 v8, v8
	v_cvt_i32_f32_e32 v10, v11
	v_cmp_ngt_f32_e64 s[0:1], s2, v7
	v_add_f32_e32 v1, v1, v19
	s_nop 0
	v_cndmask_b32_e64 v5, 0, v5, s[0:1]
	v_cmp_nlt_f32_e64 s[0:1], s4, v7
	v_sub_f32_e32 v7, v17, v28
	s_nop 0
	v_cndmask_b32_e64 v16, v32, v5, s[0:1]
	v_ldexp_f32 v5, v8, v10
	v_mul_f32_e32 v8, 0x3fb8aa3b, v7
	v_fma_f32 v10, v7, s3, -v8
	v_rndne_f32_e32 v11, v8
	v_fmac_f32_e32 v10, 0x32a5705f, v7
	v_sub_f32_e32 v8, v8, v11
	v_add_f32_e32 v8, v8, v10
	v_exp_f32_e32 v8, v8
	v_cvt_i32_f32_e32 v10, v11
	v_cmp_ngt_f32_e64 s[0:1], s2, v6
	v_add_f32_e32 v1, v1, v16
	s_nop 0
	v_cndmask_b32_e64 v5, 0, v5, s[0:1]
	v_cmp_nlt_f32_e64 s[0:1], s4, v6
	v_sub_f32_e32 v6, v21, v28
	s_nop 0
	v_cndmask_b32_e64 v13, v32, v5, s[0:1]
	v_ldexp_f32 v5, v8, v10
	v_mul_f32_e32 v8, 0x3fb8aa3b, v6
	;; [unrolled: 17-line block ×6, first 2 shown]
	v_fma_f32 v17, v6, s3, -v14
	v_rndne_f32_e32 v18, v14
	v_fmac_f32_e32 v17, 0x32a5705f, v6
	v_sub_f32_e32 v14, v14, v18
	v_add_f32_e32 v14, v14, v17
	v_exp_f32_e32 v14, v14
	v_cvt_i32_f32_e32 v17, v18
	v_cmp_ngt_f32_e64 s[0:1], s2, v7
	v_add_f32_e32 v1, v1, v8
	s_nop 0
	v_cndmask_b32_e64 v5, 0, v5, s[0:1]
	v_cmp_nlt_f32_e64 s[0:1], s4, v7
	s_nop 1
	v_cndmask_b32_e64 v7, v32, v5, s[0:1]
	v_ldexp_f32 v5, v14, v17
	v_sub_f32_e32 v14, v15, v28
	v_mul_f32_e32 v15, 0x3fb8aa3b, v14
	v_fma_f32 v17, v14, s3, -v15
	v_rndne_f32_e32 v18, v15
	v_fmac_f32_e32 v17, 0x32a5705f, v14
	v_sub_f32_e32 v15, v15, v18
	v_add_f32_e32 v15, v15, v17
	v_exp_f32_e32 v15, v15
	v_cvt_i32_f32_e32 v17, v18
	v_cmp_ngt_f32_e64 s[0:1], s2, v6
	v_add_f32_e32 v1, v1, v7
	s_nop 0
	v_cndmask_b32_e64 v5, 0, v5, s[0:1]
	v_cmp_nlt_f32_e64 s[0:1], s4, v6
	s_nop 1
	v_cndmask_b32_e64 v6, v32, v5, s[0:1]
	v_ldexp_f32 v5, v15, v17
	v_mul_f32_e32 v15, 0x3fb8aa3b, v12
	v_fma_f32 v17, v12, s3, -v15
	v_rndne_f32_e32 v18, v15
	v_fmac_f32_e32 v17, 0x32a5705f, v12
	v_sub_f32_e32 v15, v15, v18
	v_add_f32_e32 v15, v15, v17
	v_exp_f32_e32 v15, v15
	v_cvt_i32_f32_e32 v17, v18
	v_cmp_ngt_f32_e64 s[0:1], s2, v14
	v_add_f32_e32 v1, v1, v6
	s_nop 0
	v_cndmask_b32_e64 v5, 0, v5, s[0:1]
	v_cmp_nlt_f32_e64 s[0:1], s4, v14
	s_nop 1
	v_cndmask_b32_e64 v5, v32, v5, s[0:1]
	v_add_f32_e32 v14, v1, v5
	v_ldexp_f32 v1, v15, v17
	v_cmp_ngt_f32_e64 s[0:1], s2, v12
	s_nop 1
	v_cndmask_b32_e64 v1, 0, v1, s[0:1]
	v_cmp_nlt_f32_e64 s[0:1], s4, v12
	s_nop 1
	v_cndmask_b32_e64 v1, v32, v1, s[0:1]
	v_add_f32_e32 v12, v14, v1
	ds_bpermute_b32 v4, v4, v12
	v_cmp_gt_i32_e64 s[0:1], s10, v0
	s_and_b64 s[0:1], vcc, s[0:1]
	s_waitcnt lgkmcnt(0)
	v_add_f32_e32 v4, v12, v4
	ds_bpermute_b32 v12, v25, v4
	s_waitcnt lgkmcnt(0)
	v_add_f32_e32 v4, v4, v12
	ds_bpermute_b32 v12, v27, v4
	;; [unrolled: 3-line block ×4, first 2 shown]
	s_and_saveexec_b64 s[2:3], s[0:1]
	s_cbranch_execz .LBB9_57
; %bb.21:
	s_mov_b32 s0, 0xc61c4000
	v_cmp_neq_f32_e64 s[0:1], s0, v28
	s_waitcnt lgkmcnt(0)
	v_add_f32_e32 v4, v4, v12
	v_mov_b32_e32 v12, 0
	v_mov_b32_e32 v14, 0
	s_and_saveexec_b64 s[2:3], s[0:1]
	s_cbranch_execz .LBB9_23
; %bb.22:
	v_div_scale_f32 v14, s[4:5], v4, v4, v30
	v_rcp_f32_e32 v15, v14
	v_div_scale_f32 v17, vcc, v30, v4, v30
	v_fma_f32 v18, -v14, v15, 1.0
	v_fmac_f32_e32 v15, v18, v15
	v_mul_f32_e32 v18, v17, v15
	v_fma_f32 v21, -v14, v18, v17
	v_fmac_f32_e32 v18, v21, v15
	v_fma_f32 v14, -v14, v18, v17
	v_div_fmas_f32 v14, v14, v15, v18
	v_div_fixup_f32 v14, v14, v4, v30
	v_cvt_f16_f32_e32 v14, v14
.LBB9_23:
	s_or_b64 exec, exec, s[2:3]
	s_and_saveexec_b64 s[2:3], s[0:1]
	s_cbranch_execz .LBB9_25
; %bb.24:
	v_div_scale_f32 v12, s[4:5], v4, v4, v26
	v_rcp_f32_e32 v15, v12
	v_div_scale_f32 v17, vcc, v26, v4, v26
	v_fma_f32 v18, -v12, v15, 1.0
	v_fmac_f32_e32 v15, v18, v15
	v_mul_f32_e32 v18, v17, v15
	v_fma_f32 v21, -v12, v18, v17
	v_fmac_f32_e32 v18, v21, v15
	v_fma_f32 v12, -v12, v18, v17
	v_div_fmas_f32 v12, v12, v15, v18
	v_div_fixup_f32 v12, v12, v4, v26
	v_cvt_f16_f32_e32 v12, v12
.LBB9_25:
	s_or_b64 exec, exec, s[2:3]
	v_mov_b32_e32 v15, 0
	v_mov_b32_e32 v17, 0
	s_and_saveexec_b64 s[2:3], s[0:1]
	s_cbranch_execz .LBB9_27
; %bb.26:
	v_div_scale_f32 v17, s[4:5], v4, v4, v24
	v_rcp_f32_e32 v18, v17
	v_div_scale_f32 v21, vcc, v24, v4, v24
	v_fma_f32 v22, -v17, v18, 1.0
	v_fmac_f32_e32 v18, v22, v18
	v_mul_f32_e32 v22, v21, v18
	v_fma_f32 v25, -v17, v22, v21
	v_fmac_f32_e32 v22, v25, v18
	v_fma_f32 v17, -v17, v22, v21
	v_div_fmas_f32 v17, v17, v18, v22
	v_div_fixup_f32 v17, v17, v4, v24
	v_cvt_f16_f32_e32 v17, v17
.LBB9_27:
	s_or_b64 exec, exec, s[2:3]
	s_and_saveexec_b64 s[2:3], s[0:1]
	s_cbranch_execz .LBB9_29
; %bb.28:
	v_div_scale_f32 v15, s[4:5], v4, v4, v23
	v_rcp_f32_e32 v18, v15
	v_div_scale_f32 v21, vcc, v23, v4, v23
	v_fma_f32 v22, -v15, v18, 1.0
	v_fmac_f32_e32 v18, v22, v18
	v_mul_f32_e32 v22, v21, v18
	v_fma_f32 v24, -v15, v22, v21
	v_fmac_f32_e32 v22, v24, v18
	v_fma_f32 v15, -v15, v22, v21
	v_div_fmas_f32 v15, v15, v18, v22
	v_div_fixup_f32 v15, v15, v4, v23
	v_cvt_f16_f32_e32 v15, v15
.LBB9_29:
	s_or_b64 exec, exec, s[2:3]
	s_mov_b32 s2, 0x5040100
	v_mov_b32_e32 v22, s12
	v_mov_b32_e32 v23, s13
	v_perm_b32 v14, v12, v14, s2
	v_add_u32_e32 v12, 0x80, v0
	v_lshl_add_u64 v[2:3], v[2:3], 1, v[22:23]
	v_perm_b32 v15, v15, v17, s2
	v_cmp_gt_u32_e32 vcc, s10, v12
	global_store_dwordx2 v[2:3], v[14:15], off
	s_and_b64 exec, exec, vcc
	s_cbranch_execz .LBB9_57
; %bb.30:
	v_mov_b32_e32 v12, 0
	v_mov_b32_e32 v14, 0
	s_and_saveexec_b64 s[2:3], s[0:1]
	s_cbranch_execz .LBB9_32
; %bb.31:
	v_div_scale_f32 v14, s[4:5], v4, v4, v20
	v_rcp_f32_e32 v15, v14
	v_div_scale_f32 v17, vcc, v20, v4, v20
	v_fma_f32 v18, -v14, v15, 1.0
	v_fmac_f32_e32 v15, v18, v15
	v_mul_f32_e32 v18, v17, v15
	v_fma_f32 v21, -v14, v18, v17
	v_fmac_f32_e32 v18, v21, v15
	v_fma_f32 v14, -v14, v18, v17
	v_div_fmas_f32 v14, v14, v15, v18
	v_div_fixup_f32 v14, v14, v4, v20
	v_cvt_f16_f32_e32 v14, v14
.LBB9_32:
	s_or_b64 exec, exec, s[2:3]
	s_and_saveexec_b64 s[2:3], s[0:1]
	s_cbranch_execz .LBB9_34
; %bb.33:
	v_div_scale_f32 v12, s[4:5], v4, v4, v19
	v_rcp_f32_e32 v15, v12
	v_div_scale_f32 v17, vcc, v19, v4, v19
	v_fma_f32 v18, -v12, v15, 1.0
	v_fmac_f32_e32 v15, v18, v15
	v_mul_f32_e32 v18, v17, v15
	v_fma_f32 v20, -v12, v18, v17
	v_fmac_f32_e32 v18, v20, v15
	v_fma_f32 v12, -v12, v18, v17
	v_div_fmas_f32 v12, v12, v15, v18
	v_div_fixup_f32 v12, v12, v4, v19
	v_cvt_f16_f32_e32 v12, v12
.LBB9_34:
	s_or_b64 exec, exec, s[2:3]
	v_mov_b32_e32 v15, 0
	v_mov_b32_e32 v17, 0
	s_and_saveexec_b64 s[2:3], s[0:1]
	s_cbranch_execz .LBB9_36
; %bb.35:
	v_div_scale_f32 v17, s[4:5], v4, v4, v16
	v_rcp_f32_e32 v18, v17
	v_div_scale_f32 v19, vcc, v16, v4, v16
	v_fma_f32 v20, -v17, v18, 1.0
	v_fmac_f32_e32 v18, v20, v18
	v_mul_f32_e32 v20, v19, v18
	v_fma_f32 v21, -v17, v20, v19
	v_fmac_f32_e32 v20, v21, v18
	v_fma_f32 v17, -v17, v20, v19
	v_div_fmas_f32 v17, v17, v18, v20
	v_div_fixup_f32 v16, v17, v4, v16
	v_cvt_f16_f32_e32 v17, v16
.LBB9_36:
	s_or_b64 exec, exec, s[2:3]
	s_and_saveexec_b64 s[2:3], s[0:1]
	s_cbranch_execz .LBB9_38
; %bb.37:
	v_div_scale_f32 v15, s[4:5], v4, v4, v13
	v_rcp_f32_e32 v16, v15
	v_div_scale_f32 v18, vcc, v13, v4, v13
	v_fma_f32 v19, -v15, v16, 1.0
	v_fmac_f32_e32 v16, v19, v16
	v_mul_f32_e32 v19, v18, v16
	v_fma_f32 v20, -v15, v19, v18
	v_fmac_f32_e32 v19, v20, v16
	v_fma_f32 v15, -v15, v19, v18
	v_div_fmas_f32 v15, v15, v16, v19
	v_div_fixup_f32 v13, v15, v4, v13
	v_cvt_f16_f32_e32 v15, v13
.LBB9_38:
	s_or_b64 exec, exec, s[2:3]
	s_mov_b32 s2, 0x5040100
	v_perm_b32 v13, v15, v17, s2
	v_perm_b32 v12, v12, v14, s2
	global_store_dwordx2 v[2:3], v[12:13], off offset:256
	v_add_u32_e32 v12, 0x100, v0
	v_cmp_gt_u32_e32 vcc, s10, v12
	s_and_b64 exec, exec, vcc
	s_cbranch_execz .LBB9_57
; %bb.39:
	v_mov_b32_e32 v12, 0
	v_mov_b32_e32 v13, 0
	s_and_saveexec_b64 s[2:3], s[0:1]
	s_cbranch_execz .LBB9_41
; %bb.40:
	v_div_scale_f32 v13, s[4:5], v4, v4, v11
	v_rcp_f32_e32 v14, v13
	v_div_scale_f32 v15, vcc, v11, v4, v11
	v_fma_f32 v16, -v13, v14, 1.0
	v_fmac_f32_e32 v14, v16, v14
	v_mul_f32_e32 v16, v15, v14
	v_fma_f32 v17, -v13, v16, v15
	v_fmac_f32_e32 v16, v17, v14
	v_fma_f32 v13, -v13, v16, v15
	v_div_fmas_f32 v13, v13, v14, v16
	v_div_fixup_f32 v11, v13, v4, v11
	v_cvt_f16_f32_e32 v13, v11
.LBB9_41:
	s_or_b64 exec, exec, s[2:3]
	s_and_saveexec_b64 s[2:3], s[0:1]
	s_cbranch_execz .LBB9_43
; %bb.42:
	v_div_scale_f32 v11, s[4:5], v4, v4, v10
	v_rcp_f32_e32 v12, v11
	v_div_scale_f32 v14, vcc, v10, v4, v10
	v_fma_f32 v15, -v11, v12, 1.0
	v_fmac_f32_e32 v12, v15, v12
	v_mul_f32_e32 v15, v14, v12
	v_fma_f32 v16, -v11, v15, v14
	v_fmac_f32_e32 v15, v16, v12
	v_fma_f32 v11, -v11, v15, v14
	v_div_fmas_f32 v11, v11, v12, v15
	v_div_fixup_f32 v10, v11, v4, v10
	v_cvt_f16_f32_e32 v12, v10
.LBB9_43:
	s_or_b64 exec, exec, s[2:3]
	v_mov_b32_e32 v10, 0
	v_mov_b32_e32 v11, 0
	s_and_saveexec_b64 s[2:3], s[0:1]
	s_cbranch_execz .LBB9_45
; %bb.44:
	v_div_scale_f32 v11, s[4:5], v4, v4, v9
	v_rcp_f32_e32 v14, v11
	v_div_scale_f32 v15, vcc, v9, v4, v9
	v_fma_f32 v16, -v11, v14, 1.0
	v_fmac_f32_e32 v14, v16, v14
	v_mul_f32_e32 v16, v15, v14
	v_fma_f32 v17, -v11, v16, v15
	v_fmac_f32_e32 v16, v17, v14
	v_fma_f32 v11, -v11, v16, v15
	v_div_fmas_f32 v11, v11, v14, v16
	v_div_fixup_f32 v9, v11, v4, v9
	v_cvt_f16_f32_e32 v11, v9
.LBB9_45:
	s_or_b64 exec, exec, s[2:3]
	s_and_saveexec_b64 s[2:3], s[0:1]
	s_cbranch_execz .LBB9_47
; %bb.46:
	v_div_scale_f32 v9, s[4:5], v4, v4, v8
	v_rcp_f32_e32 v10, v9
	v_div_scale_f32 v14, vcc, v8, v4, v8
	v_fma_f32 v15, -v9, v10, 1.0
	v_fmac_f32_e32 v10, v15, v10
	v_mul_f32_e32 v15, v14, v10
	v_fma_f32 v16, -v9, v15, v14
	v_fmac_f32_e32 v15, v16, v10
	v_fma_f32 v9, -v9, v15, v14
	v_div_fmas_f32 v9, v9, v10, v15
	v_div_fixup_f32 v8, v9, v4, v8
	v_cvt_f16_f32_e32 v10, v8
.LBB9_47:
	s_or_b64 exec, exec, s[2:3]
	s_mov_b32 s2, 0x5040100
	v_add_u32_e32 v0, 0x180, v0
	v_perm_b32 v9, v10, v11, s2
	v_perm_b32 v8, v12, v13, s2
	v_cmp_gt_u32_e32 vcc, s10, v0
	global_store_dwordx2 v[2:3], v[8:9], off offset:512
	s_and_b64 exec, exec, vcc
	s_cbranch_execz .LBB9_57
; %bb.48:
	v_mov_b32_e32 v0, 0
	v_mov_b32_e32 v8, 0
	s_and_saveexec_b64 s[2:3], s[0:1]
	s_cbranch_execz .LBB9_50
; %bb.49:
	v_div_scale_f32 v8, s[4:5], v4, v4, v7
	v_rcp_f32_e32 v9, v8
	v_div_scale_f32 v10, vcc, v7, v4, v7
	v_fma_f32 v11, -v8, v9, 1.0
	v_fmac_f32_e32 v9, v11, v9
	v_mul_f32_e32 v11, v10, v9
	v_fma_f32 v12, -v8, v11, v10
	v_fmac_f32_e32 v11, v12, v9
	v_fma_f32 v8, -v8, v11, v10
	v_div_fmas_f32 v8, v8, v9, v11
	v_div_fixup_f32 v7, v8, v4, v7
	v_cvt_f16_f32_e32 v8, v7
.LBB9_50:
	s_or_b64 exec, exec, s[2:3]
	s_and_saveexec_b64 s[2:3], s[0:1]
	s_cbranch_execz .LBB9_52
; %bb.51:
	v_div_scale_f32 v0, s[4:5], v4, v4, v6
	v_rcp_f32_e32 v7, v0
	v_div_scale_f32 v9, vcc, v6, v4, v6
	v_fma_f32 v10, -v0, v7, 1.0
	v_fmac_f32_e32 v7, v10, v7
	v_mul_f32_e32 v10, v9, v7
	v_fma_f32 v11, -v0, v10, v9
	v_fmac_f32_e32 v10, v11, v7
	v_fma_f32 v0, -v0, v10, v9
	v_div_fmas_f32 v0, v0, v7, v10
	v_div_fixup_f32 v0, v0, v4, v6
	v_cvt_f16_f32_e32 v0, v0
.LBB9_52:
	s_or_b64 exec, exec, s[2:3]
	v_mov_b32_e32 v6, 0
	v_mov_b32_e32 v7, 0
	s_and_saveexec_b64 s[2:3], s[0:1]
	s_cbranch_execz .LBB9_54
; %bb.53:
	v_div_scale_f32 v7, s[4:5], v4, v4, v5
	v_rcp_f32_e32 v9, v7
	v_div_scale_f32 v10, vcc, v5, v4, v5
	v_fma_f32 v11, -v7, v9, 1.0
	v_fmac_f32_e32 v9, v11, v9
	v_mul_f32_e32 v11, v10, v9
	v_fma_f32 v12, -v7, v11, v10
	v_fmac_f32_e32 v11, v12, v9
	v_fma_f32 v7, -v7, v11, v10
	v_div_fmas_f32 v7, v7, v9, v11
	v_div_fixup_f32 v5, v7, v4, v5
	v_cvt_f16_f32_e32 v7, v5
.LBB9_54:
	s_or_b64 exec, exec, s[2:3]
	s_and_saveexec_b64 s[2:3], s[0:1]
	s_cbranch_execz .LBB9_56
; %bb.55:
	v_div_scale_f32 v5, s[0:1], v4, v4, v1
	v_rcp_f32_e32 v6, v5
	v_div_scale_f32 v9, vcc, v1, v4, v1
	v_fma_f32 v10, -v5, v6, 1.0
	v_fmac_f32_e32 v6, v10, v6
	v_mul_f32_e32 v10, v9, v6
	v_fma_f32 v11, -v5, v10, v9
	v_fmac_f32_e32 v10, v11, v6
	v_fma_f32 v5, -v5, v10, v9
	v_div_fmas_f32 v5, v5, v6, v10
	v_div_fixup_f32 v1, v5, v4, v1
	v_cvt_f16_f32_e32 v6, v1
.LBB9_56:
	s_or_b64 exec, exec, s[2:3]
	s_mov_b32 s0, 0x5040100
	v_perm_b32 v1, v6, v7, s0
	v_perm_b32 v0, v0, v8, s0
	global_store_dwordx2 v[2:3], v[0:1], off offset:768
.LBB9_57:
	s_endpgm
	.section	.rodata,"a",@progbits
	.p2align	6, 0x0
	.amdhsa_kernel _Z34scaled_masked_softmax_warp_forwardI6__halfS0_fLi9EEvPT0_PKT_PKhT1_iii
		.amdhsa_group_segment_fixed_size 0
		.amdhsa_private_segment_fixed_size 0
		.amdhsa_kernarg_size 296
		.amdhsa_user_sgpr_count 2
		.amdhsa_user_sgpr_dispatch_ptr 0
		.amdhsa_user_sgpr_queue_ptr 0
		.amdhsa_user_sgpr_kernarg_segment_ptr 1
		.amdhsa_user_sgpr_dispatch_id 0
		.amdhsa_user_sgpr_kernarg_preload_length 0
		.amdhsa_user_sgpr_kernarg_preload_offset 0
		.amdhsa_user_sgpr_private_segment_size 0
		.amdhsa_uses_dynamic_stack 0
		.amdhsa_enable_private_segment 0
		.amdhsa_system_sgpr_workgroup_id_x 1
		.amdhsa_system_sgpr_workgroup_id_y 1
		.amdhsa_system_sgpr_workgroup_id_z 1
		.amdhsa_system_sgpr_workgroup_info 0
		.amdhsa_system_vgpr_workitem_id 1
		.amdhsa_next_free_vgpr 33
		.amdhsa_next_free_sgpr 19
		.amdhsa_accum_offset 36
		.amdhsa_reserve_vcc 1
		.amdhsa_float_round_mode_32 0
		.amdhsa_float_round_mode_16_64 0
		.amdhsa_float_denorm_mode_32 3
		.amdhsa_float_denorm_mode_16_64 3
		.amdhsa_dx10_clamp 1
		.amdhsa_ieee_mode 1
		.amdhsa_fp16_overflow 0
		.amdhsa_tg_split 0
		.amdhsa_exception_fp_ieee_invalid_op 0
		.amdhsa_exception_fp_denorm_src 0
		.amdhsa_exception_fp_ieee_div_zero 0
		.amdhsa_exception_fp_ieee_overflow 0
		.amdhsa_exception_fp_ieee_underflow 0
		.amdhsa_exception_fp_ieee_inexact 0
		.amdhsa_exception_int_div_zero 0
	.end_amdhsa_kernel
	.section	.text._Z34scaled_masked_softmax_warp_forwardI6__halfS0_fLi9EEvPT0_PKT_PKhT1_iii,"axG",@progbits,_Z34scaled_masked_softmax_warp_forwardI6__halfS0_fLi9EEvPT0_PKT_PKhT1_iii,comdat
.Lfunc_end9:
	.size	_Z34scaled_masked_softmax_warp_forwardI6__halfS0_fLi9EEvPT0_PKT_PKhT1_iii, .Lfunc_end9-_Z34scaled_masked_softmax_warp_forwardI6__halfS0_fLi9EEvPT0_PKT_PKhT1_iii
                                        ; -- End function
	.set _Z34scaled_masked_softmax_warp_forwardI6__halfS0_fLi9EEvPT0_PKT_PKhT1_iii.num_vgpr, 33
	.set _Z34scaled_masked_softmax_warp_forwardI6__halfS0_fLi9EEvPT0_PKT_PKhT1_iii.num_agpr, 0
	.set _Z34scaled_masked_softmax_warp_forwardI6__halfS0_fLi9EEvPT0_PKT_PKhT1_iii.numbered_sgpr, 19
	.set _Z34scaled_masked_softmax_warp_forwardI6__halfS0_fLi9EEvPT0_PKT_PKhT1_iii.num_named_barrier, 0
	.set _Z34scaled_masked_softmax_warp_forwardI6__halfS0_fLi9EEvPT0_PKT_PKhT1_iii.private_seg_size, 0
	.set _Z34scaled_masked_softmax_warp_forwardI6__halfS0_fLi9EEvPT0_PKT_PKhT1_iii.uses_vcc, 1
	.set _Z34scaled_masked_softmax_warp_forwardI6__halfS0_fLi9EEvPT0_PKT_PKhT1_iii.uses_flat_scratch, 0
	.set _Z34scaled_masked_softmax_warp_forwardI6__halfS0_fLi9EEvPT0_PKT_PKhT1_iii.has_dyn_sized_stack, 0
	.set _Z34scaled_masked_softmax_warp_forwardI6__halfS0_fLi9EEvPT0_PKT_PKhT1_iii.has_recursion, 0
	.set _Z34scaled_masked_softmax_warp_forwardI6__halfS0_fLi9EEvPT0_PKT_PKhT1_iii.has_indirect_call, 0
	.section	.AMDGPU.csdata,"",@progbits
; Kernel info:
; codeLenInByte = 5244
; TotalNumSgprs: 25
; NumVgprs: 33
; NumAgprs: 0
; TotalNumVgprs: 33
; ScratchSize: 0
; MemoryBound: 0
; FloatMode: 240
; IeeeMode: 1
; LDSByteSize: 0 bytes/workgroup (compile time only)
; SGPRBlocks: 3
; VGPRBlocks: 4
; NumSGPRsForWavesPerEU: 25
; NumVGPRsForWavesPerEU: 33
; AccumOffset: 36
; Occupancy: 8
; WaveLimiterHint : 0
; COMPUTE_PGM_RSRC2:SCRATCH_EN: 0
; COMPUTE_PGM_RSRC2:USER_SGPR: 2
; COMPUTE_PGM_RSRC2:TRAP_HANDLER: 0
; COMPUTE_PGM_RSRC2:TGID_X_EN: 1
; COMPUTE_PGM_RSRC2:TGID_Y_EN: 1
; COMPUTE_PGM_RSRC2:TGID_Z_EN: 1
; COMPUTE_PGM_RSRC2:TIDIG_COMP_CNT: 1
; COMPUTE_PGM_RSRC3_GFX90A:ACCUM_OFFSET: 8
; COMPUTE_PGM_RSRC3_GFX90A:TG_SPLIT: 0
	.section	.text._Z34scaled_masked_softmax_warp_forwardI6__halfS0_fLi10EEvPT0_PKT_PKhT1_iii,"axG",@progbits,_Z34scaled_masked_softmax_warp_forwardI6__halfS0_fLi10EEvPT0_PKT_PKhT1_iii,comdat
	.protected	_Z34scaled_masked_softmax_warp_forwardI6__halfS0_fLi10EEvPT0_PKT_PKhT1_iii ; -- Begin function _Z34scaled_masked_softmax_warp_forwardI6__halfS0_fLi10EEvPT0_PKT_PKhT1_iii
	.globl	_Z34scaled_masked_softmax_warp_forwardI6__halfS0_fLi10EEvPT0_PKT_PKhT1_iii
	.p2align	8
	.type	_Z34scaled_masked_softmax_warp_forwardI6__halfS0_fLi10EEvPT0_PKT_PKhT1_iii,@function
_Z34scaled_masked_softmax_warp_forwardI6__halfS0_fLi10EEvPT0_PKT_PKhT1_iii: ; @_Z34scaled_masked_softmax_warp_forwardI6__halfS0_fLi10EEvPT0_PKT_PKhT1_iii
; %bb.0:
	s_load_dword s5, s[0:1], 0x34
	s_load_dwordx4 s[8:11], s[0:1], 0x18
	s_load_dwordx2 s[16:17], s[0:1], 0x28
	s_waitcnt lgkmcnt(0)
	s_lshr_b32 s18, s5, 16
	s_cmp_eq_u32 s11, 1
	s_mov_b32 s5, s2
	s_cbranch_scc1 .LBB10_2
; %bb.1:
	s_mul_i32 s5, s16, s4
	s_add_i32 s5, s5, s2
.LBB10_2:
	s_load_dwordx4 s[12:15], s[0:1], 0x0
	s_load_dwordx2 s[6:7], s[0:1], 0x10
	s_mul_i32 s1, s17, s4
	s_add_i32 s1, s1, s3
	s_mul_i32 s1, s16, s1
	s_and_b32 s0, 0xffff, s18
	s_add_i32 s1, s1, s2
	s_mul_i32 s1, s1, s0
	v_bfe_u32 v4, v0, 10, 10
	v_lshlrev_b32_e32 v0, 2, v0
	v_add_u32_e32 v1, s1, v4
	v_and_b32_e32 v0, 0xffc, v0
	v_mad_u64_u32 v[2:3], s[2:3], v1, s10, v[0:1]
	v_ashrrev_i32_e32 v3, 31, v2
	v_cmp_gt_i32_e32 vcc, s9, v1
                                        ; implicit-def: $vgpr18
                                        ; implicit-def: $vgpr22
                                        ; implicit-def: $vgpr13
                                        ; implicit-def: $vgpr1
                                        ; implicit-def: $vgpr19
                                        ; implicit-def: $vgpr23
                                        ; implicit-def: $vgpr14
                                        ; implicit-def: $vgpr8
                                        ; implicit-def: $vgpr20
                                        ; implicit-def: $vgpr32
                                        ; implicit-def: $vgpr15
                                        ; implicit-def: $vgpr9
                                        ; implicit-def: $vgpr21
                                        ; implicit-def: $vgpr33
                                        ; implicit-def: $vgpr16
                                        ; implicit-def: $vgpr10
                                        ; implicit-def: $vgpr29
                                        ; implicit-def: $vgpr35
                                        ; implicit-def: $vgpr17
                                        ; implicit-def: $vgpr11
                                        ; implicit-def: $vgpr30
                                        ; implicit-def: $vgpr36
                                        ; implicit-def: $vgpr26
                                        ; implicit-def: $vgpr12
                                        ; implicit-def: $vgpr31
                                        ; implicit-def: $vgpr37
                                        ; implicit-def: $vgpr27
                                        ; implicit-def: $vgpr24
                                        ; implicit-def: $vgpr34
                                        ; implicit-def: $vgpr38
                                        ; implicit-def: $vgpr28
                                        ; implicit-def: $vgpr25
	s_and_saveexec_b64 s[2:3], vcc
	s_cbranch_execz .LBB10_36
; %bb.3:
	s_mul_i32 s0, s5, s0
	s_waitcnt lgkmcnt(0)
	v_mov_b32_e32 v6, s14
	v_mov_b32_e32 v7, s15
	v_add_u32_e32 v1, s0, v4
	v_lshl_add_u64 v[4:5], v[2:3], 1, v[6:7]
	v_mad_u64_u32 v[6:7], s[0:1], v1, s10, v[0:1]
	v_ashrrev_i32_e32 v7, 31, v6
	v_lshl_add_u64 v[6:7], s[6:7], 0, v[6:7]
	v_cmp_gt_i32_e64 s[0:1], s10, v0
	v_mov_b32_e32 v18, 0xff800000
	v_mov_b32_e32 v22, 0xff800000
	;; [unrolled: 1-line block ×4, first 2 shown]
	s_and_saveexec_b64 s[4:5], s[0:1]
	s_cbranch_execz .LBB10_7
; %bb.4:
	global_load_dword v1, v[6:7], off
	global_load_dword v11, v[4:5], off offset:2
	global_load_ushort v10, v[4:5], off offset:6
	v_mov_b32_e32 v8, 1
	s_movk_i32 s6, 0xff
	v_mov_b32_e32 v9, 0xc61c4000
	v_mov_b32_e32 v18, 0xc61c4000
	s_waitcnt vmcnt(2)
	v_lshrrev_b32_e32 v12, 8, v1
	v_cmp_ne_u16_sdwa s[14:15], v1, v8 src0_sel:BYTE_0 src1_sel:DWORD
	s_and_saveexec_b64 s[0:1], s[14:15]
	s_cbranch_execz .LBB10_6
; %bb.5:
	global_load_ushort v13, v[4:5], off
	s_waitcnt vmcnt(0)
	v_cvt_f32_f16_e32 v13, v13
	v_mul_f32_e32 v18, s8, v13
.LBB10_6:
	s_or_b64 exec, exec, s[0:1]
	s_waitcnt vmcnt(1)
	v_cvt_f32_f16_e32 v13, v11
	v_cvt_f32_f16_sdwa v11, v11 dst_sel:DWORD dst_unused:UNUSED_PAD src0_sel:WORD_1
	s_waitcnt vmcnt(0)
	v_cvt_f32_f16_e32 v10, v10
	v_and_b32_sdwa v14, v1, s6 dst_sel:DWORD dst_unused:UNUSED_PAD src0_sel:WORD_1 src1_sel:DWORD
	v_mul_f32_e32 v13, s8, v13
	v_cmp_ne_u16_sdwa s[0:1], v12, v8 src0_sel:BYTE_0 src1_sel:DWORD
	v_mul_f32_e32 v11, s8, v11
	v_mul_f32_e32 v10, s8, v10
	v_cndmask_b32_e64 v22, v9, v13, s[0:1]
	v_cmp_ne_u16_e64 s[0:1], 1, v14
	s_nop 1
	v_cndmask_b32_e64 v13, v9, v11, s[0:1]
	v_cmp_ne_u16_sdwa s[0:1], v1, v8 src0_sel:BYTE_3 src1_sel:DWORD
	s_nop 1
	v_cndmask_b32_e64 v1, v9, v10, s[0:1]
.LBB10_7:
	s_or_b64 exec, exec, s[4:5]
	v_add_u32_e32 v8, 0x80, v0
	v_cmp_gt_i32_e64 s[0:1], s10, v8
	v_mov_b32_e32 v19, 0xff800000
	v_mov_b32_e32 v23, 0xff800000
	;; [unrolled: 1-line block ×4, first 2 shown]
	s_and_saveexec_b64 s[4:5], s[0:1]
	s_cbranch_execz .LBB10_11
; %bb.8:
	global_load_dword v8, v[6:7], off offset:128
	global_load_dword v12, v[4:5], off offset:258
	global_load_ushort v11, v[4:5], off offset:262
	v_mov_b32_e32 v9, 1
	s_movk_i32 s6, 0xff
	v_mov_b32_e32 v10, 0xc61c4000
	v_mov_b32_e32 v19, 0xc61c4000
	s_waitcnt vmcnt(2)
	v_lshrrev_b32_e32 v14, 8, v8
	v_cmp_ne_u16_sdwa s[14:15], v8, v9 src0_sel:BYTE_0 src1_sel:DWORD
	s_and_saveexec_b64 s[0:1], s[14:15]
	s_cbranch_execz .LBB10_10
; %bb.9:
	global_load_ushort v15, v[4:5], off offset:256
	s_waitcnt vmcnt(0)
	v_cvt_f32_f16_e32 v15, v15
	v_mul_f32_e32 v19, s8, v15
.LBB10_10:
	s_or_b64 exec, exec, s[0:1]
	s_waitcnt vmcnt(1)
	v_cvt_f32_f16_e32 v15, v12
	v_cvt_f32_f16_sdwa v12, v12 dst_sel:DWORD dst_unused:UNUSED_PAD src0_sel:WORD_1
	s_waitcnt vmcnt(0)
	v_cvt_f32_f16_e32 v11, v11
	v_and_b32_sdwa v16, v8, s6 dst_sel:DWORD dst_unused:UNUSED_PAD src0_sel:WORD_1 src1_sel:DWORD
	v_mul_f32_e32 v15, s8, v15
	v_cmp_ne_u16_sdwa s[0:1], v14, v9 src0_sel:BYTE_0 src1_sel:DWORD
	v_mul_f32_e32 v12, s8, v12
	v_mul_f32_e32 v11, s8, v11
	v_cndmask_b32_e64 v23, v10, v15, s[0:1]
	v_cmp_ne_u16_e64 s[0:1], 1, v16
	s_nop 1
	v_cndmask_b32_e64 v14, v10, v12, s[0:1]
	v_cmp_ne_u16_sdwa s[0:1], v8, v9 src0_sel:BYTE_3 src1_sel:DWORD
	s_nop 1
	v_cndmask_b32_e64 v8, v10, v11, s[0:1]
.LBB10_11:
	s_or_b64 exec, exec, s[4:5]
	v_add_u32_e32 v9, 0x100, v0
	v_cmp_gt_i32_e64 s[0:1], s10, v9
	v_mov_b32_e32 v20, 0xff800000
	v_mov_b32_e32 v32, 0xff800000
	;; [unrolled: 1-line block ×4, first 2 shown]
	s_and_saveexec_b64 s[4:5], s[0:1]
	s_cbranch_execz .LBB10_15
; %bb.12:
	global_load_dword v9, v[6:7], off offset:256
	global_load_dword v15, v[4:5], off offset:514
	global_load_ushort v12, v[4:5], off offset:518
	v_mov_b32_e32 v10, 1
	s_movk_i32 s6, 0xff
	v_mov_b32_e32 v11, 0xc61c4000
	v_mov_b32_e32 v20, 0xc61c4000
	s_waitcnt vmcnt(2)
	v_lshrrev_b32_e32 v16, 8, v9
	v_cmp_ne_u16_sdwa s[14:15], v9, v10 src0_sel:BYTE_0 src1_sel:DWORD
	s_and_saveexec_b64 s[0:1], s[14:15]
	s_cbranch_execz .LBB10_14
; %bb.13:
	global_load_ushort v17, v[4:5], off offset:512
	s_waitcnt vmcnt(0)
	v_cvt_f32_f16_e32 v17, v17
	v_mul_f32_e32 v20, s8, v17
.LBB10_14:
	s_or_b64 exec, exec, s[0:1]
	s_waitcnt vmcnt(1)
	v_cvt_f32_f16_e32 v17, v15
	v_cvt_f32_f16_sdwa v15, v15 dst_sel:DWORD dst_unused:UNUSED_PAD src0_sel:WORD_1
	s_waitcnt vmcnt(0)
	v_cvt_f32_f16_e32 v12, v12
	v_and_b32_sdwa v21, v9, s6 dst_sel:DWORD dst_unused:UNUSED_PAD src0_sel:WORD_1 src1_sel:DWORD
	v_mul_f32_e32 v17, s8, v17
	v_cmp_ne_u16_sdwa s[0:1], v16, v10 src0_sel:BYTE_0 src1_sel:DWORD
	v_mul_f32_e32 v15, s8, v15
	v_mul_f32_e32 v12, s8, v12
	v_cndmask_b32_e64 v32, v11, v17, s[0:1]
	v_cmp_ne_u16_e64 s[0:1], 1, v21
	s_nop 1
	v_cndmask_b32_e64 v15, v11, v15, s[0:1]
	v_cmp_ne_u16_sdwa s[0:1], v9, v10 src0_sel:BYTE_3 src1_sel:DWORD
	s_nop 1
	v_cndmask_b32_e64 v9, v11, v12, s[0:1]
.LBB10_15:
	s_or_b64 exec, exec, s[4:5]
	v_add_u32_e32 v10, 0x180, v0
	v_cmp_gt_i32_e64 s[0:1], s10, v10
	v_mov_b32_e32 v21, 0xff800000
	v_mov_b32_e32 v33, 0xff800000
	v_mov_b32_e32 v16, 0xff800000
	v_mov_b32_e32 v10, 0xff800000
	s_and_saveexec_b64 s[4:5], s[0:1]
	s_cbranch_execz .LBB10_19
; %bb.16:
	global_load_dword v10, v[6:7], off offset:384
	global_load_dword v17, v[4:5], off offset:770
	global_load_ushort v16, v[4:5], off offset:774
	v_mov_b32_e32 v11, 1
	s_movk_i32 s6, 0xff
	v_mov_b32_e32 v12, 0xc61c4000
	v_mov_b32_e32 v21, 0xc61c4000
	s_waitcnt vmcnt(2)
	v_lshrrev_b32_e32 v24, 8, v10
	v_cmp_ne_u16_sdwa s[14:15], v10, v11 src0_sel:BYTE_0 src1_sel:DWORD
	s_and_saveexec_b64 s[0:1], s[14:15]
	s_cbranch_execz .LBB10_18
; %bb.17:
	global_load_ushort v21, v[4:5], off offset:768
	s_waitcnt vmcnt(0)
	v_cvt_f32_f16_e32 v21, v21
	v_mul_f32_e32 v21, s8, v21
.LBB10_18:
	s_or_b64 exec, exec, s[0:1]
	s_waitcnt vmcnt(1)
	v_cvt_f32_f16_e32 v25, v17
	v_cvt_f32_f16_sdwa v17, v17 dst_sel:DWORD dst_unused:UNUSED_PAD src0_sel:WORD_1
	v_cmp_ne_u16_sdwa s[0:1], v24, v11 src0_sel:BYTE_0 src1_sel:DWORD
	s_waitcnt vmcnt(0)
	v_cvt_f32_f16_e32 v24, v16
	v_and_b32_sdwa v26, v10, s6 dst_sel:DWORD dst_unused:UNUSED_PAD src0_sel:WORD_1 src1_sel:DWORD
	v_mul_f32_e32 v25, s8, v25
	v_cndmask_b32_e64 v33, v12, v25, s[0:1]
	v_mul_f32_e32 v16, s8, v17
	v_cmp_ne_u16_e64 s[0:1], 1, v26
	v_mul_f32_e32 v17, s8, v24
	s_nop 0
	v_cndmask_b32_e64 v16, v12, v16, s[0:1]
	v_cmp_ne_u16_sdwa s[0:1], v10, v11 src0_sel:BYTE_3 src1_sel:DWORD
	s_nop 1
	v_cndmask_b32_e64 v10, v12, v17, s[0:1]
.LBB10_19:
	s_or_b64 exec, exec, s[4:5]
	v_add_u32_e32 v11, 0x200, v0
	v_cmp_gt_i32_e64 s[0:1], s10, v11
	v_mov_b32_e32 v29, 0xff800000
	v_mov_b32_e32 v35, 0xff800000
	v_mov_b32_e32 v17, 0xff800000
	v_mov_b32_e32 v11, 0xff800000
	s_and_saveexec_b64 s[4:5], s[0:1]
	s_cbranch_execz .LBB10_23
; %bb.20:
	global_load_dword v11, v[6:7], off offset:512
	global_load_dword v25, v[4:5], off offset:1026
	global_load_ushort v17, v[4:5], off offset:1030
	v_mov_b32_e32 v12, 1
	s_movk_i32 s6, 0xff
	v_mov_b32_e32 v24, 0xc61c4000
	v_mov_b32_e32 v29, 0xc61c4000
	s_waitcnt vmcnt(2)
	v_lshrrev_b32_e32 v26, 8, v11
	v_cmp_ne_u16_sdwa s[14:15], v11, v12 src0_sel:BYTE_0 src1_sel:DWORD
	s_and_saveexec_b64 s[0:1], s[14:15]
	s_cbranch_execz .LBB10_22
; %bb.21:
	global_load_ushort v27, v[4:5], off offset:1024
	s_waitcnt vmcnt(0)
	v_cvt_f32_f16_e32 v27, v27
	v_mul_f32_e32 v29, s8, v27
.LBB10_22:
	s_or_b64 exec, exec, s[0:1]
	s_waitcnt vmcnt(1)
	v_cvt_f32_f16_e32 v27, v25
	v_cvt_f32_f16_sdwa v25, v25 dst_sel:DWORD dst_unused:UNUSED_PAD src0_sel:WORD_1
	v_cmp_ne_u16_sdwa s[0:1], v26, v12 src0_sel:BYTE_0 src1_sel:DWORD
	s_waitcnt vmcnt(0)
	v_cvt_f32_f16_e32 v26, v17
	v_and_b32_sdwa v28, v11, s6 dst_sel:DWORD dst_unused:UNUSED_PAD src0_sel:WORD_1 src1_sel:DWORD
	v_mul_f32_e32 v27, s8, v27
	v_cndmask_b32_e64 v35, v24, v27, s[0:1]
	v_mul_f32_e32 v17, s8, v25
	v_cmp_ne_u16_e64 s[0:1], 1, v28
	v_mul_f32_e32 v25, s8, v26
	s_nop 0
	v_cndmask_b32_e64 v17, v24, v17, s[0:1]
	v_cmp_ne_u16_sdwa s[0:1], v11, v12 src0_sel:BYTE_3 src1_sel:DWORD
	s_nop 1
	v_cndmask_b32_e64 v11, v24, v25, s[0:1]
.LBB10_23:
	;; [unrolled: 47-line block ×3, first 2 shown]
	s_or_b64 exec, exec, s[4:5]
	v_add_u32_e32 v24, 0x300, v0
	v_cmp_gt_i32_e64 s[0:1], s10, v24
	v_mov_b32_e32 v31, 0xff800000
	v_mov_b32_e32 v37, 0xff800000
	;; [unrolled: 1-line block ×4, first 2 shown]
	s_and_saveexec_b64 s[4:5], s[0:1]
	s_cbranch_execz .LBB10_31
; %bb.28:
	global_load_dword v24, v[6:7], off offset:768
	global_load_dword v34, v[4:5], off offset:1538
	global_load_ushort v27, v[4:5], off offset:1542
	v_mov_b32_e32 v25, 1
	s_movk_i32 s6, 0xff
	v_mov_b32_e32 v28, 0xc61c4000
	v_mov_b32_e32 v31, 0xc61c4000
	s_waitcnt vmcnt(2)
	v_lshrrev_b32_e32 v37, 8, v24
	v_cmp_ne_u16_sdwa s[14:15], v24, v25 src0_sel:BYTE_0 src1_sel:DWORD
	s_and_saveexec_b64 s[0:1], s[14:15]
	s_cbranch_execz .LBB10_30
; %bb.29:
	global_load_ushort v31, v[4:5], off offset:1536
	s_waitcnt vmcnt(0)
	v_cvt_f32_f16_e32 v31, v31
	v_mul_f32_e32 v31, s8, v31
.LBB10_30:
	s_or_b64 exec, exec, s[0:1]
	s_waitcnt vmcnt(1)
	v_cvt_f32_f16_e32 v38, v34
	v_cvt_f32_f16_sdwa v34, v34 dst_sel:DWORD dst_unused:UNUSED_PAD src0_sel:WORD_1
	v_cmp_ne_u16_sdwa s[0:1], v37, v25 src0_sel:BYTE_0 src1_sel:DWORD
	v_and_b32_sdwa v39, v24, s6 dst_sel:DWORD dst_unused:UNUSED_PAD src0_sel:WORD_1 src1_sel:DWORD
	v_mul_f32_e32 v38, s8, v38
	v_cndmask_b32_e64 v37, v28, v38, s[0:1]
	s_waitcnt vmcnt(0)
	v_cvt_f32_f16_e32 v38, v27
	v_mul_f32_e32 v27, s8, v34
	v_cmp_ne_u16_e64 s[0:1], 1, v39
	v_mul_f32_e32 v34, s8, v38
	s_nop 0
	v_cndmask_b32_e64 v27, v28, v27, s[0:1]
	v_cmp_ne_u16_sdwa s[0:1], v24, v25 src0_sel:BYTE_3 src1_sel:DWORD
	s_nop 1
	v_cndmask_b32_e64 v24, v28, v34, s[0:1]
.LBB10_31:
	s_or_b64 exec, exec, s[4:5]
	v_add_u32_e32 v25, 0x380, v0
	v_cmp_gt_i32_e64 s[0:1], s10, v25
	v_mov_b32_e32 v34, 0xff800000
	v_mov_b32_e32 v38, 0xff800000
	;; [unrolled: 1-line block ×4, first 2 shown]
	s_and_saveexec_b64 s[4:5], s[0:1]
	s_cbranch_execz .LBB10_35
; %bb.32:
	global_load_dword v25, v[6:7], off offset:896
	global_load_dword v38, v[4:5], off offset:1794
	global_load_ushort v28, v[4:5], off offset:1798
	v_mov_b32_e32 v6, 1
	s_movk_i32 s6, 0xff
	v_mov_b32_e32 v7, 0xc61c4000
	v_mov_b32_e32 v34, 0xc61c4000
	s_waitcnt vmcnt(2)
	v_lshrrev_b32_e32 v39, 8, v25
	v_cmp_ne_u16_sdwa s[14:15], v25, v6 src0_sel:BYTE_0 src1_sel:DWORD
	s_and_saveexec_b64 s[0:1], s[14:15]
	s_cbranch_execz .LBB10_34
; %bb.33:
	global_load_ushort v4, v[4:5], off offset:1792
	s_waitcnt vmcnt(0)
	v_cvt_f32_f16_e32 v4, v4
	v_mul_f32_e32 v34, s8, v4
.LBB10_34:
	s_or_b64 exec, exec, s[0:1]
	s_waitcnt vmcnt(1)
	v_cvt_f32_f16_e32 v4, v38
	v_cvt_f32_f16_sdwa v40, v38 dst_sel:DWORD dst_unused:UNUSED_PAD src0_sel:WORD_1
	v_cmp_ne_u16_sdwa s[0:1], v39, v6 src0_sel:BYTE_0 src1_sel:DWORD
	v_and_b32_sdwa v5, v25, s6 dst_sel:DWORD dst_unused:UNUSED_PAD src0_sel:WORD_1 src1_sel:DWORD
	v_mul_f32_e32 v4, s8, v4
	v_cndmask_b32_e64 v38, v7, v4, s[0:1]
	s_waitcnt vmcnt(0)
	v_cvt_f32_f16_e32 v4, v28
	v_mul_f32_e32 v28, s8, v40
	v_cmp_ne_u16_e64 s[0:1], 1, v5
	v_mul_f32_e32 v4, s8, v4
	s_nop 0
	v_cndmask_b32_e64 v28, v7, v28, s[0:1]
	v_cmp_ne_u16_sdwa s[0:1], v25, v6 src0_sel:BYTE_3 src1_sel:DWORD
	s_nop 1
	v_cndmask_b32_e64 v25, v7, v4, s[0:1]
.LBB10_35:
	s_or_b64 exec, exec, s[4:5]
.LBB10_36:
	s_or_b64 exec, exec, s[2:3]
	v_cmp_gt_f32_e64 s[0:1], v18, v22
	s_mov_b32 s3, 0x3fb8aa3b
	s_mov_b32 s2, 0xc2ce8ed0
	v_cndmask_b32_e64 v4, v22, v18, s[0:1]
	v_cmp_gt_f32_e64 s[0:1], v4, v13
	s_mov_b32 s4, 0x42b17218
	v_mov_b32_e32 v55, 0x7f800000
	v_cndmask_b32_e64 v4, v13, v4, s[0:1]
	v_cmp_gt_f32_e64 s[0:1], v4, v1
	s_nop 1
	v_cndmask_b32_e64 v4, v1, v4, s[0:1]
	v_cmp_gt_f32_e64 s[0:1], v4, v19
	s_nop 1
	;; [unrolled: 3-line block ×29, first 2 shown]
	v_cndmask_b32_e64 v5, v25, v4, s[0:1]
	v_mbcnt_lo_u32_b32 v4, -1, 0
	v_mbcnt_hi_u32_b32 v6, -1, v4
	v_and_b32_e32 v4, 0x60, v6
	v_add_u32_e32 v7, 32, v4
	v_xor_b32_e32 v4, 16, v6
	v_cmp_lt_i32_e64 s[0:1], v4, v7
	s_nop 1
	v_cndmask_b32_e64 v4, v6, v4, s[0:1]
	v_lshlrev_b32_e32 v4, 2, v4
	ds_bpermute_b32 v39, v4, v5
	s_waitcnt lgkmcnt(0)
	v_cmp_lt_f32_e64 s[0:1], v5, v39
	s_nop 1
	v_cndmask_b32_e64 v5, v5, v39, s[0:1]
	v_xor_b32_e32 v39, 8, v6
	v_cmp_lt_i32_e64 s[0:1], v39, v7
	s_nop 1
	v_cndmask_b32_e64 v39, v6, v39, s[0:1]
	v_lshlrev_b32_e32 v48, 2, v39
	ds_bpermute_b32 v39, v48, v5
	s_waitcnt lgkmcnt(0)
	v_cmp_lt_f32_e64 s[0:1], v5, v39
	s_nop 1
	v_cndmask_b32_e64 v5, v5, v39, s[0:1]
	;; [unrolled: 10-line block ×5, first 2 shown]
	v_sub_f32_e32 v5, v18, v51
	v_mul_f32_e32 v6, 0x3fb8aa3b, v5
	v_fma_f32 v7, v5, s3, -v6
	v_rndne_f32_e32 v18, v6
	v_fmac_f32_e32 v7, 0x32a5705f, v5
	v_sub_f32_e32 v6, v6, v18
	v_add_f32_e32 v6, v6, v7
	v_exp_f32_e32 v6, v6
	v_cvt_i32_f32_e32 v7, v18
	v_cmp_ngt_f32_e64 s[0:1], s2, v5
	v_sub_f32_e32 v1, v1, v51
	v_sub_f32_e32 v25, v25, v51
	v_ldexp_f32 v6, v6, v7
	v_sub_f32_e32 v7, v22, v51
	v_mul_f32_e32 v18, 0x3fb8aa3b, v7
	v_fma_f32 v22, v7, s3, -v18
	v_rndne_f32_e32 v39, v18
	v_fmac_f32_e32 v22, 0x32a5705f, v7
	v_sub_f32_e32 v18, v18, v39
	v_add_f32_e32 v18, v18, v22
	v_exp_f32_e32 v18, v18
	v_cvt_i32_f32_e32 v22, v39
	v_cndmask_b32_e64 v6, 0, v6, s[0:1]
	v_cmp_nlt_f32_e64 s[0:1], s4, v5
	v_ldexp_f32 v5, v18, v22
	s_nop 0
	v_cndmask_b32_e64 v53, v55, v6, s[0:1]
	v_sub_f32_e32 v6, v13, v51
	v_mul_f32_e32 v13, 0x3fb8aa3b, v6
	v_fma_f32 v18, v6, s3, -v13
	v_rndne_f32_e32 v22, v13
	v_fmac_f32_e32 v18, 0x32a5705f, v6
	v_sub_f32_e32 v13, v13, v22
	v_add_f32_e32 v13, v13, v18
	v_exp_f32_e32 v13, v13
	v_cvt_i32_f32_e32 v18, v22
	v_cmp_ngt_f32_e64 s[0:1], s2, v7
	s_nop 1
	v_cndmask_b32_e64 v5, 0, v5, s[0:1]
	v_cmp_nlt_f32_e64 s[0:1], s4, v7
	v_ldexp_f32 v7, v13, v18
	v_mul_f32_e32 v13, 0x3fb8aa3b, v1
	v_fma_f32 v18, v1, s3, -v13
	v_rndne_f32_e32 v22, v13
	v_fmac_f32_e32 v18, 0x32a5705f, v1
	v_sub_f32_e32 v13, v13, v22
	v_add_f32_e32 v13, v13, v18
	v_exp_f32_e32 v13, v13
	v_cvt_i32_f32_e32 v18, v22
	v_cndmask_b32_e64 v49, v55, v5, s[0:1]
	v_cmp_ngt_f32_e64 s[0:1], s2, v6
	v_add_f32_e32 v5, v53, v49
	s_nop 0
	v_cndmask_b32_e64 v7, 0, v7, s[0:1]
	v_cmp_nlt_f32_e64 s[0:1], s4, v6
	v_ldexp_f32 v6, v13, v18
	s_nop 0
	v_cndmask_b32_e64 v47, v55, v7, s[0:1]
	v_sub_f32_e32 v7, v19, v51
	v_mul_f32_e32 v13, 0x3fb8aa3b, v7
	v_fma_f32 v18, v7, s3, -v13
	v_rndne_f32_e32 v19, v13
	v_fmac_f32_e32 v18, 0x32a5705f, v7
	v_sub_f32_e32 v13, v13, v19
	v_add_f32_e32 v13, v13, v18
	v_exp_f32_e32 v13, v13
	v_cvt_i32_f32_e32 v18, v19
	v_cmp_ngt_f32_e64 s[0:1], s2, v1
	v_add_f32_e32 v5, v5, v47
	s_nop 0
	v_cndmask_b32_e64 v6, 0, v6, s[0:1]
	v_cmp_nlt_f32_e64 s[0:1], s4, v1
	s_nop 1
	v_cndmask_b32_e64 v46, v55, v6, s[0:1]
	v_sub_f32_e32 v6, v23, v51
	v_add_f32_e32 v1, v5, v46
	v_ldexp_f32 v5, v13, v18
	v_mul_f32_e32 v13, 0x3fb8aa3b, v6
	v_fma_f32 v18, v6, s3, -v13
	v_rndne_f32_e32 v19, v13
	v_fmac_f32_e32 v18, 0x32a5705f, v6
	v_sub_f32_e32 v13, v13, v19
	v_add_f32_e32 v13, v13, v18
	v_exp_f32_e32 v13, v13
	v_cvt_i32_f32_e32 v18, v19
	v_cmp_ngt_f32_e64 s[0:1], s2, v7
	s_nop 1
	v_cndmask_b32_e64 v5, 0, v5, s[0:1]
	v_cmp_nlt_f32_e64 s[0:1], s4, v7
	v_sub_f32_e32 v7, v14, v51
	s_nop 0
	v_cndmask_b32_e64 v45, v55, v5, s[0:1]
	v_ldexp_f32 v5, v13, v18
	v_mul_f32_e32 v13, 0x3fb8aa3b, v7
	v_fma_f32 v14, v7, s3, -v13
	v_rndne_f32_e32 v18, v13
	v_fmac_f32_e32 v14, 0x32a5705f, v7
	v_sub_f32_e32 v13, v13, v18
	v_add_f32_e32 v13, v13, v14
	v_exp_f32_e32 v13, v13
	v_cvt_i32_f32_e32 v14, v18
	v_cmp_ngt_f32_e64 s[0:1], s2, v6
	v_add_f32_e32 v1, v1, v45
	s_nop 0
	v_cndmask_b32_e64 v5, 0, v5, s[0:1]
	v_cmp_nlt_f32_e64 s[0:1], s4, v6
	v_sub_f32_e32 v6, v8, v51
	v_mul_f32_e32 v8, 0x3fb8aa3b, v6
	v_cndmask_b32_e64 v44, v55, v5, s[0:1]
	v_ldexp_f32 v5, v13, v14
	v_fma_f32 v13, v6, s3, -v8
	v_rndne_f32_e32 v14, v8
	v_fmac_f32_e32 v13, 0x32a5705f, v6
	v_sub_f32_e32 v8, v8, v14
	v_add_f32_e32 v8, v8, v13
	v_exp_f32_e32 v8, v8
	v_cvt_i32_f32_e32 v13, v14
	v_cmp_ngt_f32_e64 s[0:1], s2, v7
	v_add_f32_e32 v1, v1, v44
	s_nop 0
	v_cndmask_b32_e64 v5, 0, v5, s[0:1]
	v_cmp_nlt_f32_e64 s[0:1], s4, v7
	v_sub_f32_e32 v7, v20, v51
	s_nop 0
	v_cndmask_b32_e64 v43, v55, v5, s[0:1]
	v_ldexp_f32 v5, v8, v13
	v_mul_f32_e32 v8, 0x3fb8aa3b, v7
	v_fma_f32 v13, v7, s3, -v8
	v_rndne_f32_e32 v14, v8
	v_fmac_f32_e32 v13, 0x32a5705f, v7
	v_sub_f32_e32 v8, v8, v14
	v_add_f32_e32 v8, v8, v13
	v_exp_f32_e32 v8, v8
	v_cvt_i32_f32_e32 v13, v14
	v_cmp_ngt_f32_e64 s[0:1], s2, v6
	v_add_f32_e32 v1, v1, v43
	s_nop 0
	v_cndmask_b32_e64 v5, 0, v5, s[0:1]
	v_cmp_nlt_f32_e64 s[0:1], s4, v6
	v_sub_f32_e32 v6, v32, v51
	s_nop 0
	v_cndmask_b32_e64 v42, v55, v5, s[0:1]
	v_ldexp_f32 v5, v8, v13
	v_mul_f32_e32 v8, 0x3fb8aa3b, v6
	;; [unrolled: 17-line block ×22, first 2 shown]
	v_fma_f32 v26, v6, s3, -v24
	v_rndne_f32_e32 v27, v24
	v_fmac_f32_e32 v26, 0x32a5705f, v6
	v_sub_f32_e32 v24, v24, v27
	v_add_f32_e32 v24, v24, v26
	v_exp_f32_e32 v24, v24
	v_cvt_i32_f32_e32 v26, v27
	v_cmp_ngt_f32_e64 s[0:1], s2, v7
	v_add_f32_e32 v1, v1, v8
	s_nop 0
	v_cndmask_b32_e64 v5, 0, v5, s[0:1]
	v_cmp_nlt_f32_e64 s[0:1], s4, v7
	s_nop 1
	v_cndmask_b32_e64 v7, v55, v5, s[0:1]
	v_ldexp_f32 v5, v24, v26
	v_sub_f32_e32 v24, v28, v51
	v_mul_f32_e32 v26, 0x3fb8aa3b, v24
	v_fma_f32 v27, v24, s3, -v26
	v_rndne_f32_e32 v28, v26
	v_fmac_f32_e32 v27, 0x32a5705f, v24
	v_sub_f32_e32 v26, v26, v28
	v_add_f32_e32 v26, v26, v27
	v_exp_f32_e32 v26, v26
	v_cvt_i32_f32_e32 v27, v28
	v_cmp_ngt_f32_e64 s[0:1], s2, v6
	v_add_f32_e32 v1, v1, v7
	s_nop 0
	v_cndmask_b32_e64 v5, 0, v5, s[0:1]
	v_cmp_nlt_f32_e64 s[0:1], s4, v6
	s_nop 1
	v_cndmask_b32_e64 v6, v55, v5, s[0:1]
	v_ldexp_f32 v5, v26, v27
	v_mul_f32_e32 v26, 0x3fb8aa3b, v25
	v_fma_f32 v27, v25, s3, -v26
	v_rndne_f32_e32 v28, v26
	v_fmac_f32_e32 v27, 0x32a5705f, v25
	v_sub_f32_e32 v26, v26, v28
	v_add_f32_e32 v26, v26, v27
	v_exp_f32_e32 v26, v26
	v_cvt_i32_f32_e32 v27, v28
	v_cmp_ngt_f32_e64 s[0:1], s2, v24
	v_add_f32_e32 v1, v1, v6
	s_nop 0
	v_cndmask_b32_e64 v5, 0, v5, s[0:1]
	v_cmp_nlt_f32_e64 s[0:1], s4, v24
	s_nop 1
	v_cndmask_b32_e64 v5, v55, v5, s[0:1]
	v_add_f32_e32 v24, v1, v5
	v_ldexp_f32 v1, v26, v27
	v_cmp_ngt_f32_e64 s[0:1], s2, v25
	s_nop 1
	v_cndmask_b32_e64 v1, 0, v1, s[0:1]
	v_cmp_nlt_f32_e64 s[0:1], s4, v25
	s_nop 1
	v_cndmask_b32_e64 v1, v55, v1, s[0:1]
	v_add_f32_e32 v24, v24, v1
	ds_bpermute_b32 v4, v4, v24
	v_cmp_gt_i32_e64 s[0:1], s10, v0
	s_and_b64 s[0:1], vcc, s[0:1]
	s_waitcnt lgkmcnt(0)
	v_add_f32_e32 v4, v24, v4
	ds_bpermute_b32 v24, v48, v4
	s_waitcnt lgkmcnt(0)
	v_add_f32_e32 v4, v4, v24
	ds_bpermute_b32 v24, v50, v4
	;; [unrolled: 3-line block ×4, first 2 shown]
	s_and_saveexec_b64 s[2:3], s[0:1]
	s_cbranch_execz .LBB10_109
; %bb.37:
	s_mov_b32 s0, 0xc61c4000
	v_cmp_neq_f32_e64 s[0:1], s0, v51
	s_waitcnt lgkmcnt(0)
	v_add_f32_e32 v4, v4, v24
	v_mov_b32_e32 v24, 0
	v_mov_b32_e32 v25, 0
	s_and_saveexec_b64 s[2:3], s[0:1]
	s_cbranch_execz .LBB10_39
; %bb.38:
	v_div_scale_f32 v25, s[4:5], v4, v4, v53
	v_rcp_f32_e32 v26, v25
	v_div_scale_f32 v27, vcc, v53, v4, v53
	v_fma_f32 v28, -v25, v26, 1.0
	v_fmac_f32_e32 v26, v28, v26
	v_mul_f32_e32 v28, v27, v26
	v_fma_f32 v29, -v25, v28, v27
	v_fmac_f32_e32 v28, v29, v26
	v_fma_f32 v25, -v25, v28, v27
	v_div_fmas_f32 v25, v25, v26, v28
	v_div_fixup_f32 v25, v25, v4, v53
	v_cvt_f16_f32_e32 v25, v25
.LBB10_39:
	s_or_b64 exec, exec, s[2:3]
	s_and_saveexec_b64 s[2:3], s[0:1]
	s_cbranch_execz .LBB10_41
; %bb.40:
	v_div_scale_f32 v24, s[4:5], v4, v4, v49
	v_rcp_f32_e32 v26, v24
	v_div_scale_f32 v27, vcc, v49, v4, v49
	v_fma_f32 v28, -v24, v26, 1.0
	v_fmac_f32_e32 v26, v28, v26
	v_mul_f32_e32 v28, v27, v26
	v_fma_f32 v29, -v24, v28, v27
	v_fmac_f32_e32 v28, v29, v26
	v_fma_f32 v24, -v24, v28, v27
	v_div_fmas_f32 v24, v24, v26, v28
	v_div_fixup_f32 v24, v24, v4, v49
	v_cvt_f16_f32_e32 v24, v24
.LBB10_41:
	s_or_b64 exec, exec, s[2:3]
	v_mov_b32_e32 v26, 0
	v_mov_b32_e32 v27, 0
	s_and_saveexec_b64 s[2:3], s[0:1]
	s_cbranch_execz .LBB10_43
; %bb.42:
	v_div_scale_f32 v27, s[4:5], v4, v4, v47
	v_rcp_f32_e32 v28, v27
	v_div_scale_f32 v29, vcc, v47, v4, v47
	v_fma_f32 v30, -v27, v28, 1.0
	v_fmac_f32_e32 v28, v30, v28
	v_mul_f32_e32 v30, v29, v28
	v_fma_f32 v31, -v27, v30, v29
	v_fmac_f32_e32 v30, v31, v28
	v_fma_f32 v27, -v27, v30, v29
	v_div_fmas_f32 v27, v27, v28, v30
	v_div_fixup_f32 v27, v27, v4, v47
	v_cvt_f16_f32_e32 v27, v27
.LBB10_43:
	s_or_b64 exec, exec, s[2:3]
	s_and_saveexec_b64 s[2:3], s[0:1]
	s_cbranch_execz .LBB10_45
; %bb.44:
	v_div_scale_f32 v26, s[4:5], v4, v4, v46
	v_rcp_f32_e32 v28, v26
	v_div_scale_f32 v29, vcc, v46, v4, v46
	v_fma_f32 v30, -v26, v28, 1.0
	v_fmac_f32_e32 v28, v30, v28
	v_mul_f32_e32 v30, v29, v28
	v_fma_f32 v31, -v26, v30, v29
	v_fmac_f32_e32 v30, v31, v28
	v_fma_f32 v26, -v26, v30, v29
	v_div_fmas_f32 v26, v26, v28, v30
	v_div_fixup_f32 v26, v26, v4, v46
	v_cvt_f16_f32_e32 v26, v26
.LBB10_45:
	s_or_b64 exec, exec, s[2:3]
	s_mov_b32 s2, 0x5040100
	v_mov_b32_e32 v28, s12
	v_mov_b32_e32 v29, s13
	v_perm_b32 v27, v26, v27, s2
	v_perm_b32 v26, v24, v25, s2
	v_add_u32_e32 v24, 0x80, v0
	v_lshl_add_u64 v[2:3], v[2:3], 1, v[28:29]
	v_cmp_gt_u32_e32 vcc, s10, v24
	global_store_dwordx2 v[2:3], v[26:27], off
	s_and_b64 exec, exec, vcc
	s_cbranch_execz .LBB10_109
; %bb.46:
	v_mov_b32_e32 v24, 0
	v_mov_b32_e32 v25, 0
	s_and_saveexec_b64 s[2:3], s[0:1]
	s_cbranch_execz .LBB10_48
; %bb.47:
	v_div_scale_f32 v25, s[4:5], v4, v4, v45
	v_rcp_f32_e32 v26, v25
	v_div_scale_f32 v27, vcc, v45, v4, v45
	v_fma_f32 v28, -v25, v26, 1.0
	v_fmac_f32_e32 v26, v28, v26
	v_mul_f32_e32 v28, v27, v26
	v_fma_f32 v29, -v25, v28, v27
	v_fmac_f32_e32 v28, v29, v26
	v_fma_f32 v25, -v25, v28, v27
	v_div_fmas_f32 v25, v25, v26, v28
	v_div_fixup_f32 v25, v25, v4, v45
	v_cvt_f16_f32_e32 v25, v25
.LBB10_48:
	s_or_b64 exec, exec, s[2:3]
	s_and_saveexec_b64 s[2:3], s[0:1]
	s_cbranch_execz .LBB10_50
; %bb.49:
	v_div_scale_f32 v24, s[4:5], v4, v4, v44
	v_rcp_f32_e32 v26, v24
	v_div_scale_f32 v27, vcc, v44, v4, v44
	v_fma_f32 v28, -v24, v26, 1.0
	v_fmac_f32_e32 v26, v28, v26
	v_mul_f32_e32 v28, v27, v26
	v_fma_f32 v29, -v24, v28, v27
	v_fmac_f32_e32 v28, v29, v26
	v_fma_f32 v24, -v24, v28, v27
	v_div_fmas_f32 v24, v24, v26, v28
	v_div_fixup_f32 v24, v24, v4, v44
	v_cvt_f16_f32_e32 v24, v24
.LBB10_50:
	s_or_b64 exec, exec, s[2:3]
	v_mov_b32_e32 v26, 0
	v_mov_b32_e32 v27, 0
	s_and_saveexec_b64 s[2:3], s[0:1]
	s_cbranch_execz .LBB10_52
; %bb.51:
	v_div_scale_f32 v27, s[4:5], v4, v4, v43
	v_rcp_f32_e32 v28, v27
	v_div_scale_f32 v29, vcc, v43, v4, v43
	v_fma_f32 v30, -v27, v28, 1.0
	v_fmac_f32_e32 v28, v30, v28
	v_mul_f32_e32 v30, v29, v28
	v_fma_f32 v31, -v27, v30, v29
	v_fmac_f32_e32 v30, v31, v28
	v_fma_f32 v27, -v27, v30, v29
	v_div_fmas_f32 v27, v27, v28, v30
	v_div_fixup_f32 v27, v27, v4, v43
	v_cvt_f16_f32_e32 v27, v27
.LBB10_52:
	s_or_b64 exec, exec, s[2:3]
	s_and_saveexec_b64 s[2:3], s[0:1]
	s_cbranch_execz .LBB10_54
; %bb.53:
	v_div_scale_f32 v26, s[4:5], v4, v4, v42
	v_rcp_f32_e32 v28, v26
	v_div_scale_f32 v29, vcc, v42, v4, v42
	v_fma_f32 v30, -v26, v28, 1.0
	v_fmac_f32_e32 v28, v30, v28
	v_mul_f32_e32 v30, v29, v28
	v_fma_f32 v31, -v26, v30, v29
	v_fmac_f32_e32 v30, v31, v28
	v_fma_f32 v26, -v26, v30, v29
	v_div_fmas_f32 v26, v26, v28, v30
	v_div_fixup_f32 v26, v26, v4, v42
	v_cvt_f16_f32_e32 v26, v26
.LBB10_54:
	s_or_b64 exec, exec, s[2:3]
	s_mov_b32 s2, 0x5040100
	v_perm_b32 v27, v26, v27, s2
	v_perm_b32 v26, v24, v25, s2
	v_add_u32_e32 v24, 0x100, v0
	v_cmp_gt_u32_e32 vcc, s10, v24
	global_store_dwordx2 v[2:3], v[26:27], off offset:256
	s_and_b64 exec, exec, vcc
	s_cbranch_execz .LBB10_109
; %bb.55:
	v_mov_b32_e32 v24, 0
	v_mov_b32_e32 v25, 0
	s_and_saveexec_b64 s[2:3], s[0:1]
	s_cbranch_execz .LBB10_57
; %bb.56:
	v_div_scale_f32 v25, s[4:5], v4, v4, v41
	v_rcp_f32_e32 v26, v25
	v_div_scale_f32 v27, vcc, v41, v4, v41
	v_fma_f32 v28, -v25, v26, 1.0
	v_fmac_f32_e32 v26, v28, v26
	v_mul_f32_e32 v28, v27, v26
	v_fma_f32 v29, -v25, v28, v27
	v_fmac_f32_e32 v28, v29, v26
	v_fma_f32 v25, -v25, v28, v27
	v_div_fmas_f32 v25, v25, v26, v28
	v_div_fixup_f32 v25, v25, v4, v41
	v_cvt_f16_f32_e32 v25, v25
.LBB10_57:
	s_or_b64 exec, exec, s[2:3]
	s_and_saveexec_b64 s[2:3], s[0:1]
	s_cbranch_execz .LBB10_59
; %bb.58:
	v_div_scale_f32 v24, s[4:5], v4, v4, v40
	v_rcp_f32_e32 v26, v24
	v_div_scale_f32 v27, vcc, v40, v4, v40
	v_fma_f32 v28, -v24, v26, 1.0
	v_fmac_f32_e32 v26, v28, v26
	v_mul_f32_e32 v28, v27, v26
	v_fma_f32 v29, -v24, v28, v27
	v_fmac_f32_e32 v28, v29, v26
	v_fma_f32 v24, -v24, v28, v27
	v_div_fmas_f32 v24, v24, v26, v28
	v_div_fixup_f32 v24, v24, v4, v40
	v_cvt_f16_f32_e32 v24, v24
.LBB10_59:
	s_or_b64 exec, exec, s[2:3]
	v_mov_b32_e32 v26, 0
	v_mov_b32_e32 v27, 0
	s_and_saveexec_b64 s[2:3], s[0:1]
	s_cbranch_execz .LBB10_61
; %bb.60:
	v_div_scale_f32 v27, s[4:5], v4, v4, v39
	v_rcp_f32_e32 v28, v27
	v_div_scale_f32 v29, vcc, v39, v4, v39
	v_fma_f32 v30, -v27, v28, 1.0
	v_fmac_f32_e32 v28, v30, v28
	v_mul_f32_e32 v30, v29, v28
	v_fma_f32 v31, -v27, v30, v29
	v_fmac_f32_e32 v30, v31, v28
	v_fma_f32 v27, -v27, v30, v29
	v_div_fmas_f32 v27, v27, v28, v30
	v_div_fixup_f32 v27, v27, v4, v39
	v_cvt_f16_f32_e32 v27, v27
.LBB10_61:
	s_or_b64 exec, exec, s[2:3]
	s_and_saveexec_b64 s[2:3], s[0:1]
	s_cbranch_execz .LBB10_63
; %bb.62:
	v_div_scale_f32 v26, s[4:5], v4, v4, v32
	v_rcp_f32_e32 v28, v26
	v_div_scale_f32 v29, vcc, v32, v4, v32
	v_fma_f32 v30, -v26, v28, 1.0
	v_fmac_f32_e32 v28, v30, v28
	v_mul_f32_e32 v30, v29, v28
	v_fma_f32 v31, -v26, v30, v29
	v_fmac_f32_e32 v30, v31, v28
	v_fma_f32 v26, -v26, v30, v29
	v_div_fmas_f32 v26, v26, v28, v30
	v_div_fixup_f32 v26, v26, v4, v32
	v_cvt_f16_f32_e32 v26, v26
.LBB10_63:
	s_or_b64 exec, exec, s[2:3]
	s_mov_b32 s2, 0x5040100
	v_perm_b32 v27, v26, v27, s2
	v_perm_b32 v26, v24, v25, s2
	v_add_u32_e32 v24, 0x180, v0
	v_cmp_gt_u32_e32 vcc, s10, v24
	global_store_dwordx2 v[2:3], v[26:27], off offset:512
	s_and_b64 exec, exec, vcc
	s_cbranch_execz .LBB10_109
; %bb.64:
	v_mov_b32_e32 v24, 0
	v_mov_b32_e32 v25, 0
	s_and_saveexec_b64 s[2:3], s[0:1]
	s_cbranch_execz .LBB10_66
; %bb.65:
	v_div_scale_f32 v25, s[4:5], v4, v4, v23
	v_rcp_f32_e32 v26, v25
	v_div_scale_f32 v27, vcc, v23, v4, v23
	v_fma_f32 v28, -v25, v26, 1.0
	v_fmac_f32_e32 v26, v28, v26
	v_mul_f32_e32 v28, v27, v26
	v_fma_f32 v29, -v25, v28, v27
	v_fmac_f32_e32 v28, v29, v26
	v_fma_f32 v25, -v25, v28, v27
	v_div_fmas_f32 v25, v25, v26, v28
	v_div_fixup_f32 v23, v25, v4, v23
	v_cvt_f16_f32_e32 v25, v23
.LBB10_66:
	s_or_b64 exec, exec, s[2:3]
	s_and_saveexec_b64 s[2:3], s[0:1]
	s_cbranch_execz .LBB10_68
; %bb.67:
	v_div_scale_f32 v23, s[4:5], v4, v4, v22
	v_rcp_f32_e32 v24, v23
	v_div_scale_f32 v26, vcc, v22, v4, v22
	v_fma_f32 v27, -v23, v24, 1.0
	v_fmac_f32_e32 v24, v27, v24
	v_mul_f32_e32 v27, v26, v24
	v_fma_f32 v28, -v23, v27, v26
	v_fmac_f32_e32 v27, v28, v24
	v_fma_f32 v23, -v23, v27, v26
	v_div_fmas_f32 v23, v23, v24, v27
	v_div_fixup_f32 v22, v23, v4, v22
	v_cvt_f16_f32_e32 v24, v22
.LBB10_68:
	s_or_b64 exec, exec, s[2:3]
	v_mov_b32_e32 v22, 0
	v_mov_b32_e32 v23, 0
	s_and_saveexec_b64 s[2:3], s[0:1]
	s_cbranch_execz .LBB10_70
; %bb.69:
	v_div_scale_f32 v23, s[4:5], v4, v4, v21
	v_rcp_f32_e32 v26, v23
	v_div_scale_f32 v27, vcc, v21, v4, v21
	v_fma_f32 v28, -v23, v26, 1.0
	v_fmac_f32_e32 v26, v28, v26
	v_mul_f32_e32 v28, v27, v26
	v_fma_f32 v29, -v23, v28, v27
	v_fmac_f32_e32 v28, v29, v26
	v_fma_f32 v23, -v23, v28, v27
	v_div_fmas_f32 v23, v23, v26, v28
	v_div_fixup_f32 v21, v23, v4, v21
	v_cvt_f16_f32_e32 v23, v21
.LBB10_70:
	s_or_b64 exec, exec, s[2:3]
	s_and_saveexec_b64 s[2:3], s[0:1]
	s_cbranch_execz .LBB10_72
; %bb.71:
	v_div_scale_f32 v21, s[4:5], v4, v4, v20
	v_rcp_f32_e32 v22, v21
	v_div_scale_f32 v26, vcc, v20, v4, v20
	v_fma_f32 v27, -v21, v22, 1.0
	v_fmac_f32_e32 v22, v27, v22
	v_mul_f32_e32 v27, v26, v22
	v_fma_f32 v28, -v21, v27, v26
	v_fmac_f32_e32 v27, v28, v22
	v_fma_f32 v21, -v21, v27, v26
	v_div_fmas_f32 v21, v21, v22, v27
	v_div_fixup_f32 v20, v21, v4, v20
	v_cvt_f16_f32_e32 v22, v20
.LBB10_72:
	s_or_b64 exec, exec, s[2:3]
	s_mov_b32 s2, 0x5040100
	v_perm_b32 v21, v22, v23, s2
	v_perm_b32 v20, v24, v25, s2
	global_store_dwordx2 v[2:3], v[20:21], off offset:768
	v_add_u32_e32 v20, 0x200, v0
	v_cmp_gt_u32_e32 vcc, s10, v20
	s_and_b64 exec, exec, vcc
	s_cbranch_execz .LBB10_109
; %bb.73:
	v_mov_b32_e32 v20, 0
	v_mov_b32_e32 v21, 0
	s_and_saveexec_b64 s[2:3], s[0:1]
	s_cbranch_execz .LBB10_75
; %bb.74:
	v_div_scale_f32 v21, s[4:5], v4, v4, v19
	v_rcp_f32_e32 v22, v21
	v_div_scale_f32 v23, vcc, v19, v4, v19
	v_fma_f32 v24, -v21, v22, 1.0
	v_fmac_f32_e32 v22, v24, v22
	v_mul_f32_e32 v24, v23, v22
	v_fma_f32 v25, -v21, v24, v23
	v_fmac_f32_e32 v24, v25, v22
	v_fma_f32 v21, -v21, v24, v23
	v_div_fmas_f32 v21, v21, v22, v24
	v_div_fixup_f32 v19, v21, v4, v19
	v_cvt_f16_f32_e32 v21, v19
.LBB10_75:
	s_or_b64 exec, exec, s[2:3]
	s_and_saveexec_b64 s[2:3], s[0:1]
	s_cbranch_execz .LBB10_77
; %bb.76:
	v_div_scale_f32 v19, s[4:5], v4, v4, v18
	v_rcp_f32_e32 v20, v19
	v_div_scale_f32 v22, vcc, v18, v4, v18
	v_fma_f32 v23, -v19, v20, 1.0
	v_fmac_f32_e32 v20, v23, v20
	v_mul_f32_e32 v23, v22, v20
	v_fma_f32 v24, -v19, v23, v22
	v_fmac_f32_e32 v23, v24, v20
	v_fma_f32 v19, -v19, v23, v22
	v_div_fmas_f32 v19, v19, v20, v23
	v_div_fixup_f32 v18, v19, v4, v18
	v_cvt_f16_f32_e32 v20, v18
.LBB10_77:
	s_or_b64 exec, exec, s[2:3]
	v_mov_b32_e32 v18, 0
	v_mov_b32_e32 v19, 0
	s_and_saveexec_b64 s[2:3], s[0:1]
	s_cbranch_execz .LBB10_79
; %bb.78:
	v_div_scale_f32 v19, s[4:5], v4, v4, v17
	v_rcp_f32_e32 v22, v19
	v_div_scale_f32 v23, vcc, v17, v4, v17
	v_fma_f32 v24, -v19, v22, 1.0
	v_fmac_f32_e32 v22, v24, v22
	v_mul_f32_e32 v24, v23, v22
	v_fma_f32 v25, -v19, v24, v23
	v_fmac_f32_e32 v24, v25, v22
	v_fma_f32 v19, -v19, v24, v23
	v_div_fmas_f32 v19, v19, v22, v24
	v_div_fixup_f32 v17, v19, v4, v17
	v_cvt_f16_f32_e32 v19, v17
.LBB10_79:
	s_or_b64 exec, exec, s[2:3]
	s_and_saveexec_b64 s[2:3], s[0:1]
	s_cbranch_execz .LBB10_81
; %bb.80:
	v_div_scale_f32 v17, s[4:5], v4, v4, v16
	v_rcp_f32_e32 v18, v17
	v_div_scale_f32 v22, vcc, v16, v4, v16
	v_fma_f32 v23, -v17, v18, 1.0
	v_fmac_f32_e32 v18, v23, v18
	v_mul_f32_e32 v23, v22, v18
	v_fma_f32 v24, -v17, v23, v22
	v_fmac_f32_e32 v23, v24, v18
	v_fma_f32 v17, -v17, v23, v22
	v_div_fmas_f32 v17, v17, v18, v23
	v_div_fixup_f32 v16, v17, v4, v16
	v_cvt_f16_f32_e32 v18, v16
.LBB10_81:
	s_or_b64 exec, exec, s[2:3]
	s_mov_b32 s2, 0x5040100
	v_perm_b32 v17, v18, v19, s2
	v_perm_b32 v16, v20, v21, s2
	global_store_dwordx2 v[2:3], v[16:17], off offset:1024
	v_add_u32_e32 v16, 0x280, v0
	v_cmp_gt_u32_e32 vcc, s10, v16
	s_and_b64 exec, exec, vcc
	s_cbranch_execz .LBB10_109
; %bb.82:
	v_mov_b32_e32 v16, 0
	v_mov_b32_e32 v17, 0
	s_and_saveexec_b64 s[2:3], s[0:1]
	s_cbranch_execz .LBB10_84
; %bb.83:
	v_div_scale_f32 v17, s[4:5], v4, v4, v15
	v_rcp_f32_e32 v18, v17
	v_div_scale_f32 v19, vcc, v15, v4, v15
	v_fma_f32 v20, -v17, v18, 1.0
	v_fmac_f32_e32 v18, v20, v18
	v_mul_f32_e32 v20, v19, v18
	v_fma_f32 v21, -v17, v20, v19
	v_fmac_f32_e32 v20, v21, v18
	v_fma_f32 v17, -v17, v20, v19
	v_div_fmas_f32 v17, v17, v18, v20
	v_div_fixup_f32 v15, v17, v4, v15
	v_cvt_f16_f32_e32 v17, v15
.LBB10_84:
	s_or_b64 exec, exec, s[2:3]
	s_and_saveexec_b64 s[2:3], s[0:1]
	s_cbranch_execz .LBB10_86
; %bb.85:
	v_div_scale_f32 v15, s[4:5], v4, v4, v14
	v_rcp_f32_e32 v16, v15
	v_div_scale_f32 v18, vcc, v14, v4, v14
	v_fma_f32 v19, -v15, v16, 1.0
	v_fmac_f32_e32 v16, v19, v16
	v_mul_f32_e32 v19, v18, v16
	v_fma_f32 v20, -v15, v19, v18
	v_fmac_f32_e32 v19, v20, v16
	v_fma_f32 v15, -v15, v19, v18
	v_div_fmas_f32 v15, v15, v16, v19
	v_div_fixup_f32 v14, v15, v4, v14
	v_cvt_f16_f32_e32 v16, v14
.LBB10_86:
	s_or_b64 exec, exec, s[2:3]
	v_mov_b32_e32 v14, 0
	v_mov_b32_e32 v15, 0
	s_and_saveexec_b64 s[2:3], s[0:1]
	s_cbranch_execz .LBB10_88
; %bb.87:
	v_div_scale_f32 v15, s[4:5], v4, v4, v13
	v_rcp_f32_e32 v18, v15
	v_div_scale_f32 v19, vcc, v13, v4, v13
	v_fma_f32 v20, -v15, v18, 1.0
	v_fmac_f32_e32 v18, v20, v18
	v_mul_f32_e32 v20, v19, v18
	v_fma_f32 v21, -v15, v20, v19
	v_fmac_f32_e32 v20, v21, v18
	v_fma_f32 v15, -v15, v20, v19
	v_div_fmas_f32 v15, v15, v18, v20
	v_div_fixup_f32 v13, v15, v4, v13
	v_cvt_f16_f32_e32 v15, v13
.LBB10_88:
	s_or_b64 exec, exec, s[2:3]
	s_and_saveexec_b64 s[2:3], s[0:1]
	s_cbranch_execz .LBB10_90
; %bb.89:
	v_div_scale_f32 v13, s[4:5], v4, v4, v12
	v_rcp_f32_e32 v14, v13
	v_div_scale_f32 v18, vcc, v12, v4, v12
	v_fma_f32 v19, -v13, v14, 1.0
	v_fmac_f32_e32 v14, v19, v14
	v_mul_f32_e32 v19, v18, v14
	v_fma_f32 v20, -v13, v19, v18
	v_fmac_f32_e32 v19, v20, v14
	v_fma_f32 v13, -v13, v19, v18
	v_div_fmas_f32 v13, v13, v14, v19
	v_div_fixup_f32 v12, v13, v4, v12
	v_cvt_f16_f32_e32 v14, v12
.LBB10_90:
	s_or_b64 exec, exec, s[2:3]
	s_mov_b32 s2, 0x5040100
	v_perm_b32 v13, v14, v15, s2
	v_perm_b32 v12, v16, v17, s2
	global_store_dwordx2 v[2:3], v[12:13], off offset:1280
	v_add_u32_e32 v12, 0x300, v0
	v_cmp_gt_u32_e32 vcc, s10, v12
	s_and_b64 exec, exec, vcc
	s_cbranch_execz .LBB10_109
; %bb.91:
	v_mov_b32_e32 v12, 0
	v_mov_b32_e32 v13, 0
	s_and_saveexec_b64 s[2:3], s[0:1]
	s_cbranch_execz .LBB10_93
; %bb.92:
	v_div_scale_f32 v13, s[4:5], v4, v4, v11
	v_rcp_f32_e32 v14, v13
	v_div_scale_f32 v15, vcc, v11, v4, v11
	v_fma_f32 v16, -v13, v14, 1.0
	v_fmac_f32_e32 v14, v16, v14
	v_mul_f32_e32 v16, v15, v14
	v_fma_f32 v17, -v13, v16, v15
	v_fmac_f32_e32 v16, v17, v14
	v_fma_f32 v13, -v13, v16, v15
	v_div_fmas_f32 v13, v13, v14, v16
	v_div_fixup_f32 v11, v13, v4, v11
	v_cvt_f16_f32_e32 v13, v11
.LBB10_93:
	s_or_b64 exec, exec, s[2:3]
	s_and_saveexec_b64 s[2:3], s[0:1]
	s_cbranch_execz .LBB10_95
; %bb.94:
	v_div_scale_f32 v11, s[4:5], v4, v4, v10
	v_rcp_f32_e32 v12, v11
	v_div_scale_f32 v14, vcc, v10, v4, v10
	v_fma_f32 v15, -v11, v12, 1.0
	v_fmac_f32_e32 v12, v15, v12
	v_mul_f32_e32 v15, v14, v12
	v_fma_f32 v16, -v11, v15, v14
	v_fmac_f32_e32 v15, v16, v12
	v_fma_f32 v11, -v11, v15, v14
	v_div_fmas_f32 v11, v11, v12, v15
	v_div_fixup_f32 v10, v11, v4, v10
	v_cvt_f16_f32_e32 v12, v10
.LBB10_95:
	s_or_b64 exec, exec, s[2:3]
	v_mov_b32_e32 v10, 0
	v_mov_b32_e32 v11, 0
	s_and_saveexec_b64 s[2:3], s[0:1]
	s_cbranch_execz .LBB10_97
; %bb.96:
	v_div_scale_f32 v11, s[4:5], v4, v4, v9
	v_rcp_f32_e32 v14, v11
	v_div_scale_f32 v15, vcc, v9, v4, v9
	v_fma_f32 v16, -v11, v14, 1.0
	v_fmac_f32_e32 v14, v16, v14
	v_mul_f32_e32 v16, v15, v14
	v_fma_f32 v17, -v11, v16, v15
	v_fmac_f32_e32 v16, v17, v14
	v_fma_f32 v11, -v11, v16, v15
	v_div_fmas_f32 v11, v11, v14, v16
	v_div_fixup_f32 v9, v11, v4, v9
	v_cvt_f16_f32_e32 v11, v9
.LBB10_97:
	s_or_b64 exec, exec, s[2:3]
	s_and_saveexec_b64 s[2:3], s[0:1]
	s_cbranch_execz .LBB10_99
; %bb.98:
	v_div_scale_f32 v9, s[4:5], v4, v4, v8
	v_rcp_f32_e32 v10, v9
	v_div_scale_f32 v14, vcc, v8, v4, v8
	v_fma_f32 v15, -v9, v10, 1.0
	v_fmac_f32_e32 v10, v15, v10
	v_mul_f32_e32 v15, v14, v10
	v_fma_f32 v16, -v9, v15, v14
	v_fmac_f32_e32 v15, v16, v10
	v_fma_f32 v9, -v9, v15, v14
	v_div_fmas_f32 v9, v9, v10, v15
	v_div_fixup_f32 v8, v9, v4, v8
	v_cvt_f16_f32_e32 v10, v8
.LBB10_99:
	s_or_b64 exec, exec, s[2:3]
	s_mov_b32 s2, 0x5040100
	v_add_u32_e32 v0, 0x380, v0
	v_perm_b32 v9, v10, v11, s2
	v_perm_b32 v8, v12, v13, s2
	v_cmp_gt_u32_e32 vcc, s10, v0
	global_store_dwordx2 v[2:3], v[8:9], off offset:1536
	s_and_b64 exec, exec, vcc
	s_cbranch_execz .LBB10_109
; %bb.100:
	v_mov_b32_e32 v0, 0
	v_mov_b32_e32 v8, 0
	s_and_saveexec_b64 s[2:3], s[0:1]
	s_cbranch_execz .LBB10_102
; %bb.101:
	v_div_scale_f32 v8, s[4:5], v4, v4, v7
	v_rcp_f32_e32 v9, v8
	v_div_scale_f32 v10, vcc, v7, v4, v7
	v_fma_f32 v11, -v8, v9, 1.0
	v_fmac_f32_e32 v9, v11, v9
	v_mul_f32_e32 v11, v10, v9
	v_fma_f32 v12, -v8, v11, v10
	v_fmac_f32_e32 v11, v12, v9
	v_fma_f32 v8, -v8, v11, v10
	v_div_fmas_f32 v8, v8, v9, v11
	v_div_fixup_f32 v7, v8, v4, v7
	v_cvt_f16_f32_e32 v8, v7
.LBB10_102:
	s_or_b64 exec, exec, s[2:3]
	s_and_saveexec_b64 s[2:3], s[0:1]
	s_cbranch_execz .LBB10_104
; %bb.103:
	v_div_scale_f32 v0, s[4:5], v4, v4, v6
	v_rcp_f32_e32 v7, v0
	v_div_scale_f32 v9, vcc, v6, v4, v6
	v_fma_f32 v10, -v0, v7, 1.0
	v_fmac_f32_e32 v7, v10, v7
	v_mul_f32_e32 v10, v9, v7
	v_fma_f32 v11, -v0, v10, v9
	v_fmac_f32_e32 v10, v11, v7
	v_fma_f32 v0, -v0, v10, v9
	v_div_fmas_f32 v0, v0, v7, v10
	v_div_fixup_f32 v0, v0, v4, v6
	v_cvt_f16_f32_e32 v0, v0
.LBB10_104:
	s_or_b64 exec, exec, s[2:3]
	v_mov_b32_e32 v6, 0
	v_mov_b32_e32 v7, 0
	s_and_saveexec_b64 s[2:3], s[0:1]
	s_cbranch_execz .LBB10_106
; %bb.105:
	v_div_scale_f32 v7, s[4:5], v4, v4, v5
	v_rcp_f32_e32 v9, v7
	v_div_scale_f32 v10, vcc, v5, v4, v5
	v_fma_f32 v11, -v7, v9, 1.0
	v_fmac_f32_e32 v9, v11, v9
	v_mul_f32_e32 v11, v10, v9
	v_fma_f32 v12, -v7, v11, v10
	v_fmac_f32_e32 v11, v12, v9
	v_fma_f32 v7, -v7, v11, v10
	v_div_fmas_f32 v7, v7, v9, v11
	v_div_fixup_f32 v5, v7, v4, v5
	v_cvt_f16_f32_e32 v7, v5
.LBB10_106:
	s_or_b64 exec, exec, s[2:3]
	s_and_saveexec_b64 s[2:3], s[0:1]
	s_cbranch_execz .LBB10_108
; %bb.107:
	v_div_scale_f32 v5, s[0:1], v4, v4, v1
	v_rcp_f32_e32 v6, v5
	v_div_scale_f32 v9, vcc, v1, v4, v1
	v_fma_f32 v10, -v5, v6, 1.0
	v_fmac_f32_e32 v6, v10, v6
	v_mul_f32_e32 v10, v9, v6
	v_fma_f32 v11, -v5, v10, v9
	v_fmac_f32_e32 v10, v11, v6
	v_fma_f32 v5, -v5, v10, v9
	v_div_fmas_f32 v5, v5, v6, v10
	v_div_fixup_f32 v1, v5, v4, v1
	v_cvt_f16_f32_e32 v6, v1
.LBB10_108:
	s_or_b64 exec, exec, s[2:3]
	s_mov_b32 s0, 0x5040100
	v_perm_b32 v1, v6, v7, s0
	v_perm_b32 v0, v0, v8, s0
	global_store_dwordx2 v[2:3], v[0:1], off offset:1792
.LBB10_109:
	s_endpgm
	.section	.rodata,"a",@progbits
	.p2align	6, 0x0
	.amdhsa_kernel _Z34scaled_masked_softmax_warp_forwardI6__halfS0_fLi10EEvPT0_PKT_PKhT1_iii
		.amdhsa_group_segment_fixed_size 0
		.amdhsa_private_segment_fixed_size 0
		.amdhsa_kernarg_size 296
		.amdhsa_user_sgpr_count 2
		.amdhsa_user_sgpr_dispatch_ptr 0
		.amdhsa_user_sgpr_queue_ptr 0
		.amdhsa_user_sgpr_kernarg_segment_ptr 1
		.amdhsa_user_sgpr_dispatch_id 0
		.amdhsa_user_sgpr_kernarg_preload_length 0
		.amdhsa_user_sgpr_kernarg_preload_offset 0
		.amdhsa_user_sgpr_private_segment_size 0
		.amdhsa_uses_dynamic_stack 0
		.amdhsa_enable_private_segment 0
		.amdhsa_system_sgpr_workgroup_id_x 1
		.amdhsa_system_sgpr_workgroup_id_y 1
		.amdhsa_system_sgpr_workgroup_id_z 1
		.amdhsa_system_sgpr_workgroup_info 0
		.amdhsa_system_vgpr_workitem_id 1
		.amdhsa_next_free_vgpr 56
		.amdhsa_next_free_sgpr 19
		.amdhsa_accum_offset 56
		.amdhsa_reserve_vcc 1
		.amdhsa_float_round_mode_32 0
		.amdhsa_float_round_mode_16_64 0
		.amdhsa_float_denorm_mode_32 3
		.amdhsa_float_denorm_mode_16_64 3
		.amdhsa_dx10_clamp 1
		.amdhsa_ieee_mode 1
		.amdhsa_fp16_overflow 0
		.amdhsa_tg_split 0
		.amdhsa_exception_fp_ieee_invalid_op 0
		.amdhsa_exception_fp_denorm_src 0
		.amdhsa_exception_fp_ieee_div_zero 0
		.amdhsa_exception_fp_ieee_overflow 0
		.amdhsa_exception_fp_ieee_underflow 0
		.amdhsa_exception_fp_ieee_inexact 0
		.amdhsa_exception_int_div_zero 0
	.end_amdhsa_kernel
	.section	.text._Z34scaled_masked_softmax_warp_forwardI6__halfS0_fLi10EEvPT0_PKT_PKhT1_iii,"axG",@progbits,_Z34scaled_masked_softmax_warp_forwardI6__halfS0_fLi10EEvPT0_PKT_PKhT1_iii,comdat
.Lfunc_end10:
	.size	_Z34scaled_masked_softmax_warp_forwardI6__halfS0_fLi10EEvPT0_PKT_PKhT1_iii, .Lfunc_end10-_Z34scaled_masked_softmax_warp_forwardI6__halfS0_fLi10EEvPT0_PKT_PKhT1_iii
                                        ; -- End function
	.set _Z34scaled_masked_softmax_warp_forwardI6__halfS0_fLi10EEvPT0_PKT_PKhT1_iii.num_vgpr, 56
	.set _Z34scaled_masked_softmax_warp_forwardI6__halfS0_fLi10EEvPT0_PKT_PKhT1_iii.num_agpr, 0
	.set _Z34scaled_masked_softmax_warp_forwardI6__halfS0_fLi10EEvPT0_PKT_PKhT1_iii.numbered_sgpr, 19
	.set _Z34scaled_masked_softmax_warp_forwardI6__halfS0_fLi10EEvPT0_PKT_PKhT1_iii.num_named_barrier, 0
	.set _Z34scaled_masked_softmax_warp_forwardI6__halfS0_fLi10EEvPT0_PKT_PKhT1_iii.private_seg_size, 0
	.set _Z34scaled_masked_softmax_warp_forwardI6__halfS0_fLi10EEvPT0_PKT_PKhT1_iii.uses_vcc, 1
	.set _Z34scaled_masked_softmax_warp_forwardI6__halfS0_fLi10EEvPT0_PKT_PKhT1_iii.uses_flat_scratch, 0
	.set _Z34scaled_masked_softmax_warp_forwardI6__halfS0_fLi10EEvPT0_PKT_PKhT1_iii.has_dyn_sized_stack, 0
	.set _Z34scaled_masked_softmax_warp_forwardI6__halfS0_fLi10EEvPT0_PKT_PKhT1_iii.has_recursion, 0
	.set _Z34scaled_masked_softmax_warp_forwardI6__halfS0_fLi10EEvPT0_PKT_PKhT1_iii.has_indirect_call, 0
	.section	.AMDGPU.csdata,"",@progbits
; Kernel info:
; codeLenInByte = 9868
; TotalNumSgprs: 25
; NumVgprs: 56
; NumAgprs: 0
; TotalNumVgprs: 56
; ScratchSize: 0
; MemoryBound: 0
; FloatMode: 240
; IeeeMode: 1
; LDSByteSize: 0 bytes/workgroup (compile time only)
; SGPRBlocks: 3
; VGPRBlocks: 6
; NumSGPRsForWavesPerEU: 25
; NumVGPRsForWavesPerEU: 56
; AccumOffset: 56
; Occupancy: 8
; WaveLimiterHint : 0
; COMPUTE_PGM_RSRC2:SCRATCH_EN: 0
; COMPUTE_PGM_RSRC2:USER_SGPR: 2
; COMPUTE_PGM_RSRC2:TRAP_HANDLER: 0
; COMPUTE_PGM_RSRC2:TGID_X_EN: 1
; COMPUTE_PGM_RSRC2:TGID_Y_EN: 1
; COMPUTE_PGM_RSRC2:TGID_Z_EN: 1
; COMPUTE_PGM_RSRC2:TIDIG_COMP_CNT: 1
; COMPUTE_PGM_RSRC3_GFX90A:ACCUM_OFFSET: 13
; COMPUTE_PGM_RSRC3_GFX90A:TG_SPLIT: 0
	.section	.text._Z34scaled_masked_softmax_warp_forwardI14__hip_bfloat16S0_fLi0EEvPT0_PKT_PKhT1_iii,"axG",@progbits,_Z34scaled_masked_softmax_warp_forwardI14__hip_bfloat16S0_fLi0EEvPT0_PKT_PKhT1_iii,comdat
	.protected	_Z34scaled_masked_softmax_warp_forwardI14__hip_bfloat16S0_fLi0EEvPT0_PKT_PKhT1_iii ; -- Begin function _Z34scaled_masked_softmax_warp_forwardI14__hip_bfloat16S0_fLi0EEvPT0_PKT_PKhT1_iii
	.globl	_Z34scaled_masked_softmax_warp_forwardI14__hip_bfloat16S0_fLi0EEvPT0_PKT_PKhT1_iii
	.p2align	8
	.type	_Z34scaled_masked_softmax_warp_forwardI14__hip_bfloat16S0_fLi0EEvPT0_PKT_PKhT1_iii,@function
_Z34scaled_masked_softmax_warp_forwardI14__hip_bfloat16S0_fLi0EEvPT0_PKT_PKhT1_iii: ; @_Z34scaled_masked_softmax_warp_forwardI14__hip_bfloat16S0_fLi0EEvPT0_PKT_PKhT1_iii
; %bb.0:
	s_load_dword s5, s[0:1], 0x34
	s_load_dwordx4 s[8:11], s[0:1], 0x18
	s_load_dwordx2 s[6:7], s[0:1], 0x28
	s_waitcnt lgkmcnt(0)
	s_lshr_b32 s5, s5, 16
	s_cmp_eq_u32 s11, 1
	s_mov_b32 s11, s2
	s_cbranch_scc1 .LBB11_2
; %bb.1:
	s_mul_i32 s11, s6, s4
	s_add_i32 s11, s11, s2
.LBB11_2:
	s_mul_i32 s4, s7, s4
	s_add_i32 s4, s4, s3
	s_mul_i32 s3, s6, s4
	s_and_b32 s12, 0xffff, s5
	s_add_i32 s2, s3, s2
	s_mul_i32 s2, s2, s12
	v_bfe_u32 v2, v0, 10, 10
	v_add_lshl_u32 v1, s2, v2, 1
	v_sub_u32_e32 v3, s9, v1
	v_cmp_lt_i32_e32 vcc, 0, v3
	s_and_saveexec_b64 s[2:3], vcc
	s_cbranch_execz .LBB11_15
; %bb.3:
	s_load_dwordx4 s[4:7], s[0:1], 0x0
	s_load_dwordx2 s[2:3], s[0:1], 0x10
	s_mul_i32 s0, s11, s12
	v_add_u32_e32 v8, s0, v2
	v_and_b32_e32 v2, 0x3ff, v0
	v_mul_lo_u32 v0, s10, v8
	v_mad_u64_u32 v[4:5], s[0:1], v1, s10, v[2:3]
	v_lshl_add_u32 v0, v0, 1, v2
	s_waitcnt lgkmcnt(0)
	v_mov_b32_e32 v6, s6
	v_mov_b32_e32 v7, s7
	v_ashrrev_i32_e32 v5, 31, v4
	v_ashrrev_i32_e32 v1, 31, v0
	v_lshl_add_u64 v[6:7], v[4:5], 1, v[6:7]
	v_lshl_add_u64 v[8:9], s[2:3], 0, v[0:1]
	v_cmp_le_i32_e32 vcc, s10, v2
	v_cmp_gt_i32_e64 s[0:1], s10, v2
	v_mov_b32_e32 v0, 0xff800000
	v_mov_b32_e32 v1, 0
	s_and_saveexec_b64 s[2:3], s[0:1]
	s_cbranch_execz .LBB11_5
; %bb.4:
	global_load_ushort v0, v[6:7], off
	global_load_ubyte v10, v[8:9], off
	v_mov_b32_e32 v11, 0xc61c4000
	s_waitcnt vmcnt(1)
	v_lshlrev_b32_e32 v0, 16, v0
	v_mul_f32_e32 v0, s8, v0
	s_waitcnt vmcnt(0)
	v_cmp_ne_u16_e64 s[0:1], 1, v10
	s_nop 1
	v_cndmask_b32_e64 v0, v11, v0, s[0:1]
.LBB11_5:
	s_or_b64 exec, exec, s[2:3]
	v_cmp_eq_u32_e64 s[0:1], 1, v3
	v_cmp_ne_u32_e64 s[2:3], 1, v3
	s_and_saveexec_b64 s[6:7], s[2:3]
	s_xor_b64 s[2:3], exec, s[6:7]
	s_cbranch_execz .LBB11_11
; %bb.6:
	s_and_saveexec_b64 s[6:7], vcc
	s_xor_b64 s[6:7], exec, s[6:7]
; %bb.7:
	v_mov_b32_e32 v1, 0xff800000
                                        ; implicit-def: $vgpr8_vgpr9
                                        ; implicit-def: $vgpr6_vgpr7
; %bb.8:
	s_andn2_saveexec_b64 s[6:7], s[6:7]
	s_cbranch_execz .LBB11_10
; %bb.9:
	s_mov_b32 s11, 0
	v_lshl_add_u64 v[6:7], s[10:11], 1, v[6:7]
	global_load_ushort v1, v[6:7], off
	v_lshl_add_u64 v[6:7], v[8:9], 0, s[10:11]
	global_load_ubyte v3, v[6:7], off
	v_mov_b32_e32 v6, 0xc61c4000
	s_waitcnt vmcnt(1)
	v_lshlrev_b32_e32 v1, 16, v1
	v_mul_f32_e32 v1, s8, v1
	s_waitcnt vmcnt(0)
	v_cmp_eq_u16_e32 vcc, 1, v3
	s_nop 1
	v_cndmask_b32_e32 v1, v1, v6, vcc
.LBB11_10:
	s_or_b64 exec, exec, s[6:7]
.LBB11_11:
	s_or_b64 exec, exec, s[2:3]
	v_mov_b32_e32 v6, s4
	v_mov_b32_e32 v7, s5
	v_lshl_add_u64 v[4:5], v[4:5], 1, v[6:7]
	v_pk_add_f32 v[6:7], v[0:1], v[0:1] neg_lo:[0,1] neg_hi:[0,1]
	v_cmp_le_i32_e64 s[2:3], s10, v2
	v_cmp_gt_i32_e32 vcc, s10, v2
	s_and_saveexec_b64 s[4:5], vcc
	s_cbranch_execz .LBB11_13
; %bb.12:
	v_mul_f32_e32 v2, 0x3fb8aa3b, v6
	s_mov_b32 s6, 0x3fb8aa3b
	v_rndne_f32_e32 v3, v2
	v_sub_f32_e32 v8, v2, v3
	v_fma_f32 v2, v6, s6, -v2
	v_fmamk_f32 v2, v6, 0x32a5705f, v2
	v_add_f32_e32 v2, v8, v2
	v_exp_f32_e32 v2, v2
	v_cvt_i32_f32_e32 v3, v3
	s_mov_b32 s6, 0xc2ce8ed0
	v_cmp_ngt_f32_e32 vcc, s6, v6
	s_mov_b32 s6, 0x42b17218
	v_ldexp_f32 v2, v2, v3
	v_cndmask_b32_e32 v2, 0, v2, vcc
	v_mov_b32_e32 v3, 0x7f800000
	v_cmp_nlt_f32_e32 vcc, s6, v6
	s_mov_b32 s6, 0xc61c4000
	s_nop 0
	v_cndmask_b32_e32 v2, v3, v2, vcc
	v_div_scale_f32 v3, vcc, v2, v2, v2
	v_rcp_f32_e32 v6, v3
	s_nop 0
	v_fma_f32 v8, -v3, v6, 1.0
	v_fmac_f32_e32 v6, v8, v6
	v_mul_f32_e32 v8, v3, v6
	v_fma_f32 v9, -v3, v8, v3
	v_fmac_f32_e32 v8, v9, v6
	v_fma_f32 v3, -v3, v8, v3
	v_div_fmas_f32 v3, v3, v6, v8
	v_div_fixup_f32 v2, v3, v2, v2
	v_cvt_pk_bf16_f32 v2, v2, s0
	v_cmp_neq_f32_e32 vcc, s6, v0
	s_nop 1
	v_cndmask_b32_e32 v0, 0, v2, vcc
	global_store_short v[4:5], v0, off
.LBB11_13:
	s_or_b64 exec, exec, s[4:5]
	s_nor_b64 s[0:1], s[0:1], s[2:3]
	s_and_saveexec_b64 s[2:3], s[0:1]
	s_xor_b64 s[2:3], exec, s[2:3]
	s_cbranch_execz .LBB11_15
; %bb.14:
	v_mul_f32_e32 v0, 0x3fb8aa3b, v7
	s_mov_b32 s0, 0x3fb8aa3b
	v_rndne_f32_e32 v2, v0
	v_sub_f32_e32 v3, v0, v2
	v_fma_f32 v0, v7, s0, -v0
	v_fmamk_f32 v0, v7, 0x32a5705f, v0
	v_add_f32_e32 v0, v3, v0
	v_exp_f32_e32 v0, v0
	v_cvt_i32_f32_e32 v2, v2
	s_mov_b32 s0, 0xc2ce8ed0
	v_cmp_ngt_f32_e32 vcc, s0, v7
	s_mov_b32 s0, 0x42b17218
	v_ldexp_f32 v0, v0, v2
	v_cndmask_b32_e32 v0, 0, v0, vcc
	v_mov_b32_e32 v2, 0x7f800000
	v_cmp_nlt_f32_e32 vcc, s0, v7
	s_mov_b32 s0, 0xc61c4000
	s_mov_b32 s11, 0
	v_cndmask_b32_e32 v0, v2, v0, vcc
	v_div_scale_f32 v2, vcc, v0, v0, v0
	v_rcp_f32_e32 v3, v2
	s_nop 0
	v_fma_f32 v6, -v2, v3, 1.0
	v_fmac_f32_e32 v3, v6, v3
	v_mul_f32_e32 v6, v2, v3
	v_fma_f32 v7, -v2, v6, v2
	v_fmac_f32_e32 v6, v7, v3
	v_fma_f32 v2, -v2, v6, v2
	v_div_fmas_f32 v2, v2, v3, v6
	v_div_fixup_f32 v0, v2, v0, v0
	v_cvt_pk_bf16_f32 v0, v0, s0
	v_cmp_neq_f32_e32 vcc, s0, v1
	v_lshl_add_u64 v[2:3], s[10:11], 1, v[4:5]
	s_nop 0
	v_cndmask_b32_e32 v0, 0, v0, vcc
	global_store_short v[2:3], v0, off
.LBB11_15:
	s_endpgm
	.section	.rodata,"a",@progbits
	.p2align	6, 0x0
	.amdhsa_kernel _Z34scaled_masked_softmax_warp_forwardI14__hip_bfloat16S0_fLi0EEvPT0_PKT_PKhT1_iii
		.amdhsa_group_segment_fixed_size 0
		.amdhsa_private_segment_fixed_size 0
		.amdhsa_kernarg_size 296
		.amdhsa_user_sgpr_count 2
		.amdhsa_user_sgpr_dispatch_ptr 0
		.amdhsa_user_sgpr_queue_ptr 0
		.amdhsa_user_sgpr_kernarg_segment_ptr 1
		.amdhsa_user_sgpr_dispatch_id 0
		.amdhsa_user_sgpr_kernarg_preload_length 0
		.amdhsa_user_sgpr_kernarg_preload_offset 0
		.amdhsa_user_sgpr_private_segment_size 0
		.amdhsa_uses_dynamic_stack 0
		.amdhsa_enable_private_segment 0
		.amdhsa_system_sgpr_workgroup_id_x 1
		.amdhsa_system_sgpr_workgroup_id_y 1
		.amdhsa_system_sgpr_workgroup_id_z 1
		.amdhsa_system_sgpr_workgroup_info 0
		.amdhsa_system_vgpr_workitem_id 1
		.amdhsa_next_free_vgpr 12
		.amdhsa_next_free_sgpr 13
		.amdhsa_accum_offset 12
		.amdhsa_reserve_vcc 1
		.amdhsa_float_round_mode_32 0
		.amdhsa_float_round_mode_16_64 0
		.amdhsa_float_denorm_mode_32 3
		.amdhsa_float_denorm_mode_16_64 3
		.amdhsa_dx10_clamp 1
		.amdhsa_ieee_mode 1
		.amdhsa_fp16_overflow 0
		.amdhsa_tg_split 0
		.amdhsa_exception_fp_ieee_invalid_op 0
		.amdhsa_exception_fp_denorm_src 0
		.amdhsa_exception_fp_ieee_div_zero 0
		.amdhsa_exception_fp_ieee_overflow 0
		.amdhsa_exception_fp_ieee_underflow 0
		.amdhsa_exception_fp_ieee_inexact 0
		.amdhsa_exception_int_div_zero 0
	.end_amdhsa_kernel
	.section	.text._Z34scaled_masked_softmax_warp_forwardI14__hip_bfloat16S0_fLi0EEvPT0_PKT_PKhT1_iii,"axG",@progbits,_Z34scaled_masked_softmax_warp_forwardI14__hip_bfloat16S0_fLi0EEvPT0_PKT_PKhT1_iii,comdat
.Lfunc_end11:
	.size	_Z34scaled_masked_softmax_warp_forwardI14__hip_bfloat16S0_fLi0EEvPT0_PKT_PKhT1_iii, .Lfunc_end11-_Z34scaled_masked_softmax_warp_forwardI14__hip_bfloat16S0_fLi0EEvPT0_PKT_PKhT1_iii
                                        ; -- End function
	.set _Z34scaled_masked_softmax_warp_forwardI14__hip_bfloat16S0_fLi0EEvPT0_PKT_PKhT1_iii.num_vgpr, 12
	.set _Z34scaled_masked_softmax_warp_forwardI14__hip_bfloat16S0_fLi0EEvPT0_PKT_PKhT1_iii.num_agpr, 0
	.set _Z34scaled_masked_softmax_warp_forwardI14__hip_bfloat16S0_fLi0EEvPT0_PKT_PKhT1_iii.numbered_sgpr, 13
	.set _Z34scaled_masked_softmax_warp_forwardI14__hip_bfloat16S0_fLi0EEvPT0_PKT_PKhT1_iii.num_named_barrier, 0
	.set _Z34scaled_masked_softmax_warp_forwardI14__hip_bfloat16S0_fLi0EEvPT0_PKT_PKhT1_iii.private_seg_size, 0
	.set _Z34scaled_masked_softmax_warp_forwardI14__hip_bfloat16S0_fLi0EEvPT0_PKT_PKhT1_iii.uses_vcc, 1
	.set _Z34scaled_masked_softmax_warp_forwardI14__hip_bfloat16S0_fLi0EEvPT0_PKT_PKhT1_iii.uses_flat_scratch, 0
	.set _Z34scaled_masked_softmax_warp_forwardI14__hip_bfloat16S0_fLi0EEvPT0_PKT_PKhT1_iii.has_dyn_sized_stack, 0
	.set _Z34scaled_masked_softmax_warp_forwardI14__hip_bfloat16S0_fLi0EEvPT0_PKT_PKhT1_iii.has_recursion, 0
	.set _Z34scaled_masked_softmax_warp_forwardI14__hip_bfloat16S0_fLi0EEvPT0_PKT_PKhT1_iii.has_indirect_call, 0
	.section	.AMDGPU.csdata,"",@progbits
; Kernel info:
; codeLenInByte = 924
; TotalNumSgprs: 19
; NumVgprs: 12
; NumAgprs: 0
; TotalNumVgprs: 12
; ScratchSize: 0
; MemoryBound: 0
; FloatMode: 240
; IeeeMode: 1
; LDSByteSize: 0 bytes/workgroup (compile time only)
; SGPRBlocks: 2
; VGPRBlocks: 1
; NumSGPRsForWavesPerEU: 19
; NumVGPRsForWavesPerEU: 12
; AccumOffset: 12
; Occupancy: 8
; WaveLimiterHint : 0
; COMPUTE_PGM_RSRC2:SCRATCH_EN: 0
; COMPUTE_PGM_RSRC2:USER_SGPR: 2
; COMPUTE_PGM_RSRC2:TRAP_HANDLER: 0
; COMPUTE_PGM_RSRC2:TGID_X_EN: 1
; COMPUTE_PGM_RSRC2:TGID_Y_EN: 1
; COMPUTE_PGM_RSRC2:TGID_Z_EN: 1
; COMPUTE_PGM_RSRC2:TIDIG_COMP_CNT: 1
; COMPUTE_PGM_RSRC3_GFX90A:ACCUM_OFFSET: 2
; COMPUTE_PGM_RSRC3_GFX90A:TG_SPLIT: 0
	.section	.text._Z34scaled_masked_softmax_warp_forwardI14__hip_bfloat16S0_fLi1EEvPT0_PKT_PKhT1_iii,"axG",@progbits,_Z34scaled_masked_softmax_warp_forwardI14__hip_bfloat16S0_fLi1EEvPT0_PKT_PKhT1_iii,comdat
	.protected	_Z34scaled_masked_softmax_warp_forwardI14__hip_bfloat16S0_fLi1EEvPT0_PKT_PKhT1_iii ; -- Begin function _Z34scaled_masked_softmax_warp_forwardI14__hip_bfloat16S0_fLi1EEvPT0_PKT_PKhT1_iii
	.globl	_Z34scaled_masked_softmax_warp_forwardI14__hip_bfloat16S0_fLi1EEvPT0_PKT_PKhT1_iii
	.p2align	8
	.type	_Z34scaled_masked_softmax_warp_forwardI14__hip_bfloat16S0_fLi1EEvPT0_PKT_PKhT1_iii,@function
_Z34scaled_masked_softmax_warp_forwardI14__hip_bfloat16S0_fLi1EEvPT0_PKT_PKhT1_iii: ; @_Z34scaled_masked_softmax_warp_forwardI14__hip_bfloat16S0_fLi1EEvPT0_PKT_PKhT1_iii
; %bb.0:
	s_load_dword s5, s[0:1], 0x34
	s_load_dwordx4 s[8:11], s[0:1], 0x18
	s_load_dwordx2 s[16:17], s[0:1], 0x28
	s_waitcnt lgkmcnt(0)
	s_lshr_b32 s5, s5, 16
	s_cmp_eq_u32 s11, 1
	s_mov_b32 s11, s2
	s_cbranch_scc1 .LBB12_2
; %bb.1:
	s_mul_i32 s6, s16, s4
	s_add_i32 s11, s6, s2
.LBB12_2:
	s_load_dwordx4 s[12:15], s[0:1], 0x0
	s_load_dwordx2 s[6:7], s[0:1], 0x10
	s_mul_i32 s1, s17, s4
	s_add_i32 s1, s1, s3
	s_mul_i32 s1, s16, s1
	s_and_b32 s0, 0xffff, s5
	s_add_i32 s1, s1, s2
	s_mul_i32 s1, s1, s0
	v_bfe_u32 v4, v0, 10, 10
	v_add_lshl_u32 v2, s1, v4, 1
	v_sub_u32_e32 v1, s9, v2
	v_and_b32_e32 v0, 0x3ff, v0
	v_mad_u64_u32 v[2:3], s[2:3], v2, s10, v[0:1]
	v_ashrrev_i32_e32 v3, 31, v2
	v_cmp_lt_i32_e32 vcc, 0, v1
	v_mov_b32_e32 v9, 0
	v_mov_b32_e32 v8, 0
	s_and_saveexec_b64 s[4:5], vcc
	s_cbranch_execz .LBB12_12
; %bb.3:
	s_mul_i32 s0, s11, s0
	s_waitcnt lgkmcnt(0)
	v_mov_b32_e32 v6, s14
	v_mov_b32_e32 v7, s15
	v_add_u32_e32 v8, s0, v4
	v_lshl_add_u64 v[4:5], v[2:3], 1, v[6:7]
	v_mul_lo_u32 v6, s10, v8
	v_lshl_add_u32 v6, v6, 1, v0
	v_ashrrev_i32_e32 v7, 31, v6
	v_lshl_add_u64 v[6:7], s[6:7], 0, v[6:7]
	v_cmp_le_i32_e64 s[0:1], s10, v0
	v_cmp_gt_i32_e64 s[2:3], s10, v0
	v_mov_b32_e32 v9, 0
	v_mov_b32_e32 v8, 0xff800000
	s_and_saveexec_b64 s[6:7], s[2:3]
	s_cbranch_execz .LBB12_5
; %bb.4:
	global_load_ushort v8, v[4:5], off
	global_load_ubyte v10, v[6:7], off
	v_mov_b32_e32 v11, 0xc61c4000
	s_waitcnt vmcnt(1)
	v_lshlrev_b32_e32 v8, 16, v8
	v_mul_f32_e32 v8, s8, v8
	s_waitcnt vmcnt(0)
	v_cmp_ne_u16_e64 s[2:3], 1, v10
	s_nop 1
	v_cndmask_b32_e64 v8, v11, v8, s[2:3]
.LBB12_5:
	s_or_b64 exec, exec, s[6:7]
	v_cmp_ne_u32_e64 s[2:3], 1, v1
	s_and_saveexec_b64 s[6:7], s[2:3]
	s_xor_b64 s[2:3], exec, s[6:7]
	s_cbranch_execz .LBB12_11
; %bb.6:
	s_and_saveexec_b64 s[6:7], s[0:1]
	s_xor_b64 s[0:1], exec, s[6:7]
; %bb.7:
                                        ; implicit-def: $vgpr6_vgpr7
                                        ; implicit-def: $vgpr4_vgpr5
; %bb.8:
	s_or_saveexec_b64 s[6:7], s[0:1]
	v_mov_b32_e32 v9, 0xff800000
	s_xor_b64 exec, exec, s[6:7]
	s_cbranch_execz .LBB12_10
; %bb.9:
	s_mov_b32 s11, 0
	v_lshl_add_u64 v[4:5], s[10:11], 1, v[4:5]
	global_load_ushort v9, v[4:5], off
	v_lshl_add_u64 v[4:5], v[6:7], 0, s[10:11]
	global_load_ubyte v4, v[4:5], off
	v_mov_b32_e32 v5, 0xc61c4000
	s_waitcnt vmcnt(1)
	v_lshlrev_b32_e32 v6, 16, v9
	v_mul_f32_e32 v6, s8, v6
	s_waitcnt vmcnt(0)
	v_cmp_eq_u16_e64 s[0:1], 1, v4
	s_nop 1
	v_cndmask_b32_e64 v9, v6, v5, s[0:1]
.LBB12_10:
	s_or_b64 exec, exec, s[6:7]
.LBB12_11:
	s_or_b64 exec, exec, s[2:3]
.LBB12_12:
	s_or_b64 exec, exec, s[4:5]
	v_mbcnt_lo_u32_b32 v4, -1, 0
	v_mbcnt_hi_u32_b32 v4, -1, v4
	v_and_b32_e32 v6, 0x7e, v4
	v_xor_b32_e32 v5, 1, v4
	v_add_u32_e32 v6, 2, v6
	v_cmp_lt_i32_e64 s[0:1], v5, v6
	s_mov_b32 s2, 0x3fb8aa3b
	s_mov_b32 s3, 0xc2ce8ed0
	v_cndmask_b32_e64 v4, v4, v5, s[0:1]
	v_lshlrev_b32_e32 v7, 2, v4
	ds_bpermute_b32 v4, v7, v8
	ds_bpermute_b32 v6, v7, v9
	s_mov_b32 s4, 0x42b17218
	s_waitcnt lgkmcnt(0)
	v_cmp_lt_f32_e64 s[0:1], v8, v4
	s_nop 1
	v_cndmask_b32_e64 v5, v8, v4, s[0:1]
	v_sub_f32_e32 v8, v8, v5
	v_mul_f32_e32 v4, 0x3fb8aa3b, v8
	v_fma_f32 v10, v8, s2, -v4
	v_rndne_f32_e32 v11, v4
	v_fmac_f32_e32 v10, 0x32a5705f, v8
	v_sub_f32_e32 v4, v4, v11
	v_add_f32_e32 v4, v4, v10
	v_exp_f32_e32 v10, v4
	v_cvt_i32_f32_e32 v11, v11
	v_cmp_lt_f32_e64 s[0:1], v9, v6
	s_nop 1
	v_cndmask_b32_e64 v4, v9, v6, s[0:1]
	v_sub_f32_e32 v9, v9, v4
	v_ldexp_f32 v6, v10, v11
	v_mul_f32_e32 v10, 0x3fb8aa3b, v9
	v_fma_f32 v11, v9, s2, -v10
	v_rndne_f32_e32 v12, v10
	v_fmac_f32_e32 v11, 0x32a5705f, v9
	v_sub_f32_e32 v10, v10, v12
	v_add_f32_e32 v10, v10, v11
	v_exp_f32_e32 v10, v10
	v_cvt_i32_f32_e32 v11, v12
	v_cmp_ngt_f32_e64 s[0:1], s3, v8
	v_mov_b32_e32 v12, 0x7f800000
	s_nop 0
	v_cndmask_b32_e64 v6, 0, v6, s[0:1]
	v_cmp_nlt_f32_e64 s[0:1], s4, v8
	s_nop 1
	v_cndmask_b32_e64 v8, v12, v6, s[0:1]
	v_ldexp_f32 v6, v10, v11
	v_cmp_ngt_f32_e64 s[0:1], s3, v9
	s_nop 1
	v_cndmask_b32_e64 v6, 0, v6, s[0:1]
	v_cmp_nlt_f32_e64 s[0:1], s4, v9
	ds_bpermute_b32 v9, v7, v8
	s_nop 0
	v_cndmask_b32_e64 v6, v12, v6, s[0:1]
	ds_bpermute_b32 v7, v7, v6
	s_and_saveexec_b64 s[0:1], vcc
	s_cbranch_execz .LBB12_17
; %bb.13:
	v_mov_b32_e32 v10, s12
	v_mov_b32_e32 v11, s13
	v_lshl_add_u64 v[2:3], v[2:3], 1, v[10:11]
	v_cmp_le_i32_e64 s[0:1], s10, v0
	v_cmp_gt_i32_e32 vcc, s10, v0
	s_and_saveexec_b64 s[2:3], vcc
	s_cbranch_execz .LBB12_15
; %bb.14:
	s_waitcnt lgkmcnt(1)
	v_add_f32_e32 v0, v8, v9
	v_div_scale_f32 v9, s[4:5], v0, v0, v8
	v_rcp_f32_e32 v10, v9
	s_mov_b32 s4, 0xc61c4000
	v_fma_f32 v11, -v9, v10, 1.0
	v_fmac_f32_e32 v10, v11, v10
	v_div_scale_f32 v11, vcc, v8, v0, v8
	v_mul_f32_e32 v12, v11, v10
	v_fma_f32 v13, -v9, v12, v11
	v_fmac_f32_e32 v12, v13, v10
	v_fma_f32 v9, -v9, v12, v11
	v_div_fmas_f32 v9, v9, v10, v12
	v_div_fixup_f32 v0, v9, v0, v8
	v_cvt_pk_bf16_f32 v0, v0, s0
	v_cmp_neq_f32_e32 vcc, s4, v5
	s_nop 1
	v_cndmask_b32_e32 v0, 0, v0, vcc
	global_store_short v[2:3], v0, off
.LBB12_15:
	s_or_b64 exec, exec, s[2:3]
	v_cmp_ne_u32_e32 vcc, 1, v1
	s_xor_b64 s[0:1], s[0:1], -1
	s_and_b64 s[0:1], vcc, s[0:1]
	s_and_saveexec_b64 s[2:3], s[0:1]
	s_xor_b64 s[2:3], exec, s[2:3]
	s_cbranch_execz .LBB12_17
; %bb.16:
	s_waitcnt lgkmcnt(0)
	v_add_f32_e32 v0, v6, v7
	v_div_scale_f32 v1, s[0:1], v0, v0, v6
	v_rcp_f32_e32 v5, v1
	s_mov_b32 s0, 0xc61c4000
	s_mov_b32 s11, 0
	v_fma_f32 v7, -v1, v5, 1.0
	v_fmac_f32_e32 v5, v7, v5
	v_div_scale_f32 v7, vcc, v6, v0, v6
	v_mul_f32_e32 v8, v7, v5
	v_fma_f32 v9, -v1, v8, v7
	v_fmac_f32_e32 v8, v9, v5
	v_fma_f32 v1, -v1, v8, v7
	v_div_fmas_f32 v1, v1, v5, v8
	v_div_fixup_f32 v0, v1, v0, v6
	v_cvt_pk_bf16_f32 v5, v0, s0
	v_cmp_neq_f32_e32 vcc, s0, v4
	v_lshl_add_u64 v[0:1], s[10:11], 1, v[2:3]
	s_nop 0
	v_cndmask_b32_e32 v2, 0, v5, vcc
	global_store_short v[0:1], v2, off
.LBB12_17:
	s_endpgm
	.section	.rodata,"a",@progbits
	.p2align	6, 0x0
	.amdhsa_kernel _Z34scaled_masked_softmax_warp_forwardI14__hip_bfloat16S0_fLi1EEvPT0_PKT_PKhT1_iii
		.amdhsa_group_segment_fixed_size 0
		.amdhsa_private_segment_fixed_size 0
		.amdhsa_kernarg_size 296
		.amdhsa_user_sgpr_count 2
		.amdhsa_user_sgpr_dispatch_ptr 0
		.amdhsa_user_sgpr_queue_ptr 0
		.amdhsa_user_sgpr_kernarg_segment_ptr 1
		.amdhsa_user_sgpr_dispatch_id 0
		.amdhsa_user_sgpr_kernarg_preload_length 0
		.amdhsa_user_sgpr_kernarg_preload_offset 0
		.amdhsa_user_sgpr_private_segment_size 0
		.amdhsa_uses_dynamic_stack 0
		.amdhsa_enable_private_segment 0
		.amdhsa_system_sgpr_workgroup_id_x 1
		.amdhsa_system_sgpr_workgroup_id_y 1
		.amdhsa_system_sgpr_workgroup_id_z 1
		.amdhsa_system_sgpr_workgroup_info 0
		.amdhsa_system_vgpr_workitem_id 1
		.amdhsa_next_free_vgpr 14
		.amdhsa_next_free_sgpr 18
		.amdhsa_accum_offset 16
		.amdhsa_reserve_vcc 1
		.amdhsa_float_round_mode_32 0
		.amdhsa_float_round_mode_16_64 0
		.amdhsa_float_denorm_mode_32 3
		.amdhsa_float_denorm_mode_16_64 3
		.amdhsa_dx10_clamp 1
		.amdhsa_ieee_mode 1
		.amdhsa_fp16_overflow 0
		.amdhsa_tg_split 0
		.amdhsa_exception_fp_ieee_invalid_op 0
		.amdhsa_exception_fp_denorm_src 0
		.amdhsa_exception_fp_ieee_div_zero 0
		.amdhsa_exception_fp_ieee_overflow 0
		.amdhsa_exception_fp_ieee_underflow 0
		.amdhsa_exception_fp_ieee_inexact 0
		.amdhsa_exception_int_div_zero 0
	.end_amdhsa_kernel
	.section	.text._Z34scaled_masked_softmax_warp_forwardI14__hip_bfloat16S0_fLi1EEvPT0_PKT_PKhT1_iii,"axG",@progbits,_Z34scaled_masked_softmax_warp_forwardI14__hip_bfloat16S0_fLi1EEvPT0_PKT_PKhT1_iii,comdat
.Lfunc_end12:
	.size	_Z34scaled_masked_softmax_warp_forwardI14__hip_bfloat16S0_fLi1EEvPT0_PKT_PKhT1_iii, .Lfunc_end12-_Z34scaled_masked_softmax_warp_forwardI14__hip_bfloat16S0_fLi1EEvPT0_PKT_PKhT1_iii
                                        ; -- End function
	.set _Z34scaled_masked_softmax_warp_forwardI14__hip_bfloat16S0_fLi1EEvPT0_PKT_PKhT1_iii.num_vgpr, 14
	.set _Z34scaled_masked_softmax_warp_forwardI14__hip_bfloat16S0_fLi1EEvPT0_PKT_PKhT1_iii.num_agpr, 0
	.set _Z34scaled_masked_softmax_warp_forwardI14__hip_bfloat16S0_fLi1EEvPT0_PKT_PKhT1_iii.numbered_sgpr, 18
	.set _Z34scaled_masked_softmax_warp_forwardI14__hip_bfloat16S0_fLi1EEvPT0_PKT_PKhT1_iii.num_named_barrier, 0
	.set _Z34scaled_masked_softmax_warp_forwardI14__hip_bfloat16S0_fLi1EEvPT0_PKT_PKhT1_iii.private_seg_size, 0
	.set _Z34scaled_masked_softmax_warp_forwardI14__hip_bfloat16S0_fLi1EEvPT0_PKT_PKhT1_iii.uses_vcc, 1
	.set _Z34scaled_masked_softmax_warp_forwardI14__hip_bfloat16S0_fLi1EEvPT0_PKT_PKhT1_iii.uses_flat_scratch, 0
	.set _Z34scaled_masked_softmax_warp_forwardI14__hip_bfloat16S0_fLi1EEvPT0_PKT_PKhT1_iii.has_dyn_sized_stack, 0
	.set _Z34scaled_masked_softmax_warp_forwardI14__hip_bfloat16S0_fLi1EEvPT0_PKT_PKhT1_iii.has_recursion, 0
	.set _Z34scaled_masked_softmax_warp_forwardI14__hip_bfloat16S0_fLi1EEvPT0_PKT_PKhT1_iii.has_indirect_call, 0
	.section	.AMDGPU.csdata,"",@progbits
; Kernel info:
; codeLenInByte = 1124
; TotalNumSgprs: 24
; NumVgprs: 14
; NumAgprs: 0
; TotalNumVgprs: 14
; ScratchSize: 0
; MemoryBound: 0
; FloatMode: 240
; IeeeMode: 1
; LDSByteSize: 0 bytes/workgroup (compile time only)
; SGPRBlocks: 2
; VGPRBlocks: 1
; NumSGPRsForWavesPerEU: 24
; NumVGPRsForWavesPerEU: 14
; AccumOffset: 16
; Occupancy: 8
; WaveLimiterHint : 0
; COMPUTE_PGM_RSRC2:SCRATCH_EN: 0
; COMPUTE_PGM_RSRC2:USER_SGPR: 2
; COMPUTE_PGM_RSRC2:TRAP_HANDLER: 0
; COMPUTE_PGM_RSRC2:TGID_X_EN: 1
; COMPUTE_PGM_RSRC2:TGID_Y_EN: 1
; COMPUTE_PGM_RSRC2:TGID_Z_EN: 1
; COMPUTE_PGM_RSRC2:TIDIG_COMP_CNT: 1
; COMPUTE_PGM_RSRC3_GFX90A:ACCUM_OFFSET: 3
; COMPUTE_PGM_RSRC3_GFX90A:TG_SPLIT: 0
	.section	.text._Z34scaled_masked_softmax_warp_forwardI14__hip_bfloat16S0_fLi2EEvPT0_PKT_PKhT1_iii,"axG",@progbits,_Z34scaled_masked_softmax_warp_forwardI14__hip_bfloat16S0_fLi2EEvPT0_PKT_PKhT1_iii,comdat
	.protected	_Z34scaled_masked_softmax_warp_forwardI14__hip_bfloat16S0_fLi2EEvPT0_PKT_PKhT1_iii ; -- Begin function _Z34scaled_masked_softmax_warp_forwardI14__hip_bfloat16S0_fLi2EEvPT0_PKT_PKhT1_iii
	.globl	_Z34scaled_masked_softmax_warp_forwardI14__hip_bfloat16S0_fLi2EEvPT0_PKT_PKhT1_iii
	.p2align	8
	.type	_Z34scaled_masked_softmax_warp_forwardI14__hip_bfloat16S0_fLi2EEvPT0_PKT_PKhT1_iii,@function
_Z34scaled_masked_softmax_warp_forwardI14__hip_bfloat16S0_fLi2EEvPT0_PKT_PKhT1_iii: ; @_Z34scaled_masked_softmax_warp_forwardI14__hip_bfloat16S0_fLi2EEvPT0_PKT_PKhT1_iii
; %bb.0:
	s_load_dword s5, s[0:1], 0x34
	s_load_dwordx4 s[8:11], s[0:1], 0x18
	s_load_dwordx2 s[16:17], s[0:1], 0x28
	s_waitcnt lgkmcnt(0)
	s_lshr_b32 s5, s5, 16
	s_cmp_eq_u32 s11, 1
	s_mov_b32 s11, s2
	s_cbranch_scc1 .LBB13_2
; %bb.1:
	s_mul_i32 s6, s16, s4
	s_add_i32 s11, s6, s2
.LBB13_2:
	s_load_dwordx4 s[12:15], s[0:1], 0x0
	s_load_dwordx2 s[6:7], s[0:1], 0x10
	s_mul_i32 s1, s17, s4
	s_add_i32 s1, s1, s3
	s_mul_i32 s1, s16, s1
	s_and_b32 s0, 0xffff, s5
	s_add_i32 s1, s1, s2
	s_mul_i32 s1, s1, s0
	v_bfe_u32 v4, v0, 10, 10
	v_add_lshl_u32 v2, s1, v4, 1
	v_sub_u32_e32 v1, s9, v2
	v_and_b32_e32 v0, 0x3ff, v0
	v_mad_u64_u32 v[2:3], s[2:3], v2, s10, v[0:1]
	v_ashrrev_i32_e32 v3, 31, v2
	v_cmp_lt_i32_e32 vcc, 0, v1
	v_mov_b32_e32 v9, 0
	v_mov_b32_e32 v8, 0
	s_and_saveexec_b64 s[4:5], vcc
	s_cbranch_execz .LBB13_12
; %bb.3:
	s_mul_i32 s0, s11, s0
	s_waitcnt lgkmcnt(0)
	v_mov_b32_e32 v6, s14
	v_mov_b32_e32 v7, s15
	v_add_u32_e32 v8, s0, v4
	v_lshl_add_u64 v[4:5], v[2:3], 1, v[6:7]
	v_mul_lo_u32 v6, s10, v8
	v_lshl_add_u32 v6, v6, 1, v0
	v_ashrrev_i32_e32 v7, 31, v6
	v_lshl_add_u64 v[6:7], s[6:7], 0, v[6:7]
	v_cmp_le_i32_e64 s[0:1], s10, v0
	v_cmp_gt_i32_e64 s[2:3], s10, v0
	v_mov_b32_e32 v9, 0
	v_mov_b32_e32 v8, 0xff800000
	s_and_saveexec_b64 s[6:7], s[2:3]
	s_cbranch_execz .LBB13_5
; %bb.4:
	global_load_ushort v8, v[4:5], off
	global_load_ubyte v10, v[6:7], off
	v_mov_b32_e32 v11, 0xc61c4000
	s_waitcnt vmcnt(1)
	v_lshlrev_b32_e32 v8, 16, v8
	v_mul_f32_e32 v8, s8, v8
	s_waitcnt vmcnt(0)
	v_cmp_ne_u16_e64 s[2:3], 1, v10
	s_nop 1
	v_cndmask_b32_e64 v8, v11, v8, s[2:3]
.LBB13_5:
	s_or_b64 exec, exec, s[6:7]
	v_cmp_ne_u32_e64 s[2:3], 1, v1
	s_and_saveexec_b64 s[6:7], s[2:3]
	s_xor_b64 s[2:3], exec, s[6:7]
	s_cbranch_execz .LBB13_11
; %bb.6:
	s_and_saveexec_b64 s[6:7], s[0:1]
	s_xor_b64 s[0:1], exec, s[6:7]
; %bb.7:
                                        ; implicit-def: $vgpr6_vgpr7
                                        ; implicit-def: $vgpr4_vgpr5
; %bb.8:
	s_or_saveexec_b64 s[6:7], s[0:1]
	v_mov_b32_e32 v9, 0xff800000
	s_xor_b64 exec, exec, s[6:7]
	s_cbranch_execz .LBB13_10
; %bb.9:
	s_mov_b32 s11, 0
	v_lshl_add_u64 v[4:5], s[10:11], 1, v[4:5]
	global_load_ushort v9, v[4:5], off
	v_lshl_add_u64 v[4:5], v[6:7], 0, s[10:11]
	global_load_ubyte v4, v[4:5], off
	v_mov_b32_e32 v5, 0xc61c4000
	s_waitcnt vmcnt(1)
	v_lshlrev_b32_e32 v6, 16, v9
	v_mul_f32_e32 v6, s8, v6
	s_waitcnt vmcnt(0)
	v_cmp_eq_u16_e64 s[0:1], 1, v4
	s_nop 1
	v_cndmask_b32_e64 v9, v6, v5, s[0:1]
.LBB13_10:
	s_or_b64 exec, exec, s[6:7]
.LBB13_11:
	s_or_b64 exec, exec, s[2:3]
.LBB13_12:
	s_or_b64 exec, exec, s[4:5]
	v_mbcnt_lo_u32_b32 v4, -1, 0
	v_mbcnt_hi_u32_b32 v4, -1, v4
	v_and_b32_e32 v5, 0x7c, v4
	v_add_u32_e32 v5, 4, v5
	v_xor_b32_e32 v6, 2, v4
	v_cmp_lt_i32_e64 s[0:1], v6, v5
	v_xor_b32_e32 v11, 1, v4
	s_mov_b32 s2, 0x3fb8aa3b
	v_cndmask_b32_e64 v6, v4, v6, s[0:1]
	v_lshlrev_b32_e32 v7, 2, v6
	ds_bpermute_b32 v6, v7, v8
	v_cmp_lt_i32_e64 s[0:1], v11, v5
	ds_bpermute_b32 v10, v7, v9
	s_mov_b32 s3, 0xc2ce8ed0
	v_cndmask_b32_e64 v4, v4, v11, s[0:1]
	s_waitcnt lgkmcnt(0)
	v_cmp_lt_f32_e64 s[0:1], v8, v6
	v_lshlrev_b32_e32 v12, 2, v4
	s_mov_b32 s4, 0x42b17218
	v_cndmask_b32_e64 v4, v8, v6, s[0:1]
	ds_bpermute_b32 v5, v12, v4
	v_cmp_lt_f32_e64 s[0:1], v9, v10
	v_mov_b32_e32 v14, 0x7f800000
	s_nop 0
	v_cndmask_b32_e64 v6, v9, v10, s[0:1]
	s_waitcnt lgkmcnt(0)
	v_cmp_lt_f32_e64 s[0:1], v4, v5
	ds_bpermute_b32 v10, v12, v6
	s_nop 0
	v_cndmask_b32_e64 v5, v4, v5, s[0:1]
	v_sub_f32_e32 v8, v8, v5
	v_mul_f32_e32 v4, 0x3fb8aa3b, v8
	v_fma_f32 v11, v8, s2, -v4
	v_rndne_f32_e32 v13, v4
	v_fmac_f32_e32 v11, 0x32a5705f, v8
	v_sub_f32_e32 v4, v4, v13
	v_add_f32_e32 v4, v4, v11
	v_exp_f32_e32 v11, v4
	v_cvt_i32_f32_e32 v13, v13
	s_waitcnt lgkmcnt(0)
	v_cmp_lt_f32_e64 s[0:1], v6, v10
	s_nop 1
	v_cndmask_b32_e64 v4, v6, v10, s[0:1]
	v_sub_f32_e32 v10, v9, v4
	v_mul_f32_e32 v9, 0x3fb8aa3b, v10
	v_ldexp_f32 v6, v11, v13
	v_fma_f32 v11, v10, s2, -v9
	v_rndne_f32_e32 v13, v9
	v_fmac_f32_e32 v11, 0x32a5705f, v10
	v_sub_f32_e32 v9, v9, v13
	v_add_f32_e32 v9, v9, v11
	v_exp_f32_e32 v11, v9
	v_cvt_i32_f32_e32 v13, v13
	v_cmp_ngt_f32_e64 s[0:1], s3, v8
	s_nop 1
	v_cndmask_b32_e64 v6, 0, v6, s[0:1]
	v_cmp_nlt_f32_e64 s[0:1], s4, v8
	s_nop 1
	v_cndmask_b32_e64 v9, v14, v6, s[0:1]
	v_ldexp_f32 v6, v11, v13
	v_cmp_ngt_f32_e64 s[0:1], s3, v10
	ds_bpermute_b32 v8, v7, v9
	s_nop 0
	v_cndmask_b32_e64 v6, 0, v6, s[0:1]
	v_cmp_nlt_f32_e64 s[0:1], s4, v10
	s_waitcnt lgkmcnt(0)
	v_add_f32_e32 v10, v9, v8
	v_cndmask_b32_e64 v6, v14, v6, s[0:1]
	ds_bpermute_b32 v7, v7, v6
	ds_bpermute_b32 v11, v12, v10
	s_waitcnt lgkmcnt(1)
	v_add_f32_e32 v7, v6, v7
	ds_bpermute_b32 v8, v12, v7
	s_and_saveexec_b64 s[0:1], vcc
	s_cbranch_execz .LBB13_17
; %bb.13:
	v_mov_b32_e32 v12, s12
	v_mov_b32_e32 v13, s13
	v_lshl_add_u64 v[2:3], v[2:3], 1, v[12:13]
	v_cmp_le_i32_e64 s[0:1], s10, v0
	v_cmp_gt_i32_e32 vcc, s10, v0
	s_and_saveexec_b64 s[2:3], vcc
	s_cbranch_execz .LBB13_15
; %bb.14:
	s_waitcnt lgkmcnt(1)
	v_add_f32_e32 v0, v10, v11
	v_div_scale_f32 v10, s[4:5], v0, v0, v9
	v_rcp_f32_e32 v11, v10
	s_mov_b32 s4, 0xc61c4000
	v_fma_f32 v12, -v10, v11, 1.0
	v_fmac_f32_e32 v11, v12, v11
	v_div_scale_f32 v12, vcc, v9, v0, v9
	v_mul_f32_e32 v13, v12, v11
	v_fma_f32 v14, -v10, v13, v12
	v_fmac_f32_e32 v13, v14, v11
	v_fma_f32 v10, -v10, v13, v12
	v_div_fmas_f32 v10, v10, v11, v13
	v_div_fixup_f32 v0, v10, v0, v9
	v_cvt_pk_bf16_f32 v0, v0, s0
	v_cmp_neq_f32_e32 vcc, s4, v5
	s_nop 1
	v_cndmask_b32_e32 v0, 0, v0, vcc
	global_store_short v[2:3], v0, off
.LBB13_15:
	s_or_b64 exec, exec, s[2:3]
	v_cmp_ne_u32_e32 vcc, 1, v1
	s_xor_b64 s[0:1], s[0:1], -1
	s_and_b64 s[0:1], vcc, s[0:1]
	s_and_saveexec_b64 s[2:3], s[0:1]
	s_xor_b64 s[2:3], exec, s[2:3]
	s_cbranch_execz .LBB13_17
; %bb.16:
	s_waitcnt lgkmcnt(0)
	v_add_f32_e32 v0, v7, v8
	v_div_scale_f32 v1, s[0:1], v0, v0, v6
	v_rcp_f32_e32 v5, v1
	s_mov_b32 s0, 0xc61c4000
	s_mov_b32 s11, 0
	v_fma_f32 v7, -v1, v5, 1.0
	v_fmac_f32_e32 v5, v7, v5
	v_div_scale_f32 v7, vcc, v6, v0, v6
	v_mul_f32_e32 v8, v7, v5
	v_fma_f32 v9, -v1, v8, v7
	v_fmac_f32_e32 v8, v9, v5
	v_fma_f32 v1, -v1, v8, v7
	v_div_fmas_f32 v1, v1, v5, v8
	v_div_fixup_f32 v0, v1, v0, v6
	v_cvt_pk_bf16_f32 v5, v0, s0
	v_cmp_neq_f32_e32 vcc, s0, v4
	v_lshl_add_u64 v[0:1], s[10:11], 1, v[2:3]
	s_nop 0
	v_cndmask_b32_e32 v2, 0, v5, vcc
	global_store_short v[0:1], v2, off
.LBB13_17:
	s_endpgm
	.section	.rodata,"a",@progbits
	.p2align	6, 0x0
	.amdhsa_kernel _Z34scaled_masked_softmax_warp_forwardI14__hip_bfloat16S0_fLi2EEvPT0_PKT_PKhT1_iii
		.amdhsa_group_segment_fixed_size 0
		.amdhsa_private_segment_fixed_size 0
		.amdhsa_kernarg_size 296
		.amdhsa_user_sgpr_count 2
		.amdhsa_user_sgpr_dispatch_ptr 0
		.amdhsa_user_sgpr_queue_ptr 0
		.amdhsa_user_sgpr_kernarg_segment_ptr 1
		.amdhsa_user_sgpr_dispatch_id 0
		.amdhsa_user_sgpr_kernarg_preload_length 0
		.amdhsa_user_sgpr_kernarg_preload_offset 0
		.amdhsa_user_sgpr_private_segment_size 0
		.amdhsa_uses_dynamic_stack 0
		.amdhsa_enable_private_segment 0
		.amdhsa_system_sgpr_workgroup_id_x 1
		.amdhsa_system_sgpr_workgroup_id_y 1
		.amdhsa_system_sgpr_workgroup_id_z 1
		.amdhsa_system_sgpr_workgroup_info 0
		.amdhsa_system_vgpr_workitem_id 1
		.amdhsa_next_free_vgpr 15
		.amdhsa_next_free_sgpr 18
		.amdhsa_accum_offset 16
		.amdhsa_reserve_vcc 1
		.amdhsa_float_round_mode_32 0
		.amdhsa_float_round_mode_16_64 0
		.amdhsa_float_denorm_mode_32 3
		.amdhsa_float_denorm_mode_16_64 3
		.amdhsa_dx10_clamp 1
		.amdhsa_ieee_mode 1
		.amdhsa_fp16_overflow 0
		.amdhsa_tg_split 0
		.amdhsa_exception_fp_ieee_invalid_op 0
		.amdhsa_exception_fp_denorm_src 0
		.amdhsa_exception_fp_ieee_div_zero 0
		.amdhsa_exception_fp_ieee_overflow 0
		.amdhsa_exception_fp_ieee_underflow 0
		.amdhsa_exception_fp_ieee_inexact 0
		.amdhsa_exception_int_div_zero 0
	.end_amdhsa_kernel
	.section	.text._Z34scaled_masked_softmax_warp_forwardI14__hip_bfloat16S0_fLi2EEvPT0_PKT_PKhT1_iii,"axG",@progbits,_Z34scaled_masked_softmax_warp_forwardI14__hip_bfloat16S0_fLi2EEvPT0_PKT_PKhT1_iii,comdat
.Lfunc_end13:
	.size	_Z34scaled_masked_softmax_warp_forwardI14__hip_bfloat16S0_fLi2EEvPT0_PKT_PKhT1_iii, .Lfunc_end13-_Z34scaled_masked_softmax_warp_forwardI14__hip_bfloat16S0_fLi2EEvPT0_PKT_PKhT1_iii
                                        ; -- End function
	.set _Z34scaled_masked_softmax_warp_forwardI14__hip_bfloat16S0_fLi2EEvPT0_PKT_PKhT1_iii.num_vgpr, 15
	.set _Z34scaled_masked_softmax_warp_forwardI14__hip_bfloat16S0_fLi2EEvPT0_PKT_PKhT1_iii.num_agpr, 0
	.set _Z34scaled_masked_softmax_warp_forwardI14__hip_bfloat16S0_fLi2EEvPT0_PKT_PKhT1_iii.numbered_sgpr, 18
	.set _Z34scaled_masked_softmax_warp_forwardI14__hip_bfloat16S0_fLi2EEvPT0_PKT_PKhT1_iii.num_named_barrier, 0
	.set _Z34scaled_masked_softmax_warp_forwardI14__hip_bfloat16S0_fLi2EEvPT0_PKT_PKhT1_iii.private_seg_size, 0
	.set _Z34scaled_masked_softmax_warp_forwardI14__hip_bfloat16S0_fLi2EEvPT0_PKT_PKhT1_iii.uses_vcc, 1
	.set _Z34scaled_masked_softmax_warp_forwardI14__hip_bfloat16S0_fLi2EEvPT0_PKT_PKhT1_iii.uses_flat_scratch, 0
	.set _Z34scaled_masked_softmax_warp_forwardI14__hip_bfloat16S0_fLi2EEvPT0_PKT_PKhT1_iii.has_dyn_sized_stack, 0
	.set _Z34scaled_masked_softmax_warp_forwardI14__hip_bfloat16S0_fLi2EEvPT0_PKT_PKhT1_iii.has_recursion, 0
	.set _Z34scaled_masked_softmax_warp_forwardI14__hip_bfloat16S0_fLi2EEvPT0_PKT_PKhT1_iii.has_indirect_call, 0
	.section	.AMDGPU.csdata,"",@progbits
; Kernel info:
; codeLenInByte = 1236
; TotalNumSgprs: 24
; NumVgprs: 15
; NumAgprs: 0
; TotalNumVgprs: 15
; ScratchSize: 0
; MemoryBound: 0
; FloatMode: 240
; IeeeMode: 1
; LDSByteSize: 0 bytes/workgroup (compile time only)
; SGPRBlocks: 2
; VGPRBlocks: 1
; NumSGPRsForWavesPerEU: 24
; NumVGPRsForWavesPerEU: 15
; AccumOffset: 16
; Occupancy: 8
; WaveLimiterHint : 0
; COMPUTE_PGM_RSRC2:SCRATCH_EN: 0
; COMPUTE_PGM_RSRC2:USER_SGPR: 2
; COMPUTE_PGM_RSRC2:TRAP_HANDLER: 0
; COMPUTE_PGM_RSRC2:TGID_X_EN: 1
; COMPUTE_PGM_RSRC2:TGID_Y_EN: 1
; COMPUTE_PGM_RSRC2:TGID_Z_EN: 1
; COMPUTE_PGM_RSRC2:TIDIG_COMP_CNT: 1
; COMPUTE_PGM_RSRC3_GFX90A:ACCUM_OFFSET: 3
; COMPUTE_PGM_RSRC3_GFX90A:TG_SPLIT: 0
	.section	.text._Z34scaled_masked_softmax_warp_forwardI14__hip_bfloat16S0_fLi3EEvPT0_PKT_PKhT1_iii,"axG",@progbits,_Z34scaled_masked_softmax_warp_forwardI14__hip_bfloat16S0_fLi3EEvPT0_PKT_PKhT1_iii,comdat
	.protected	_Z34scaled_masked_softmax_warp_forwardI14__hip_bfloat16S0_fLi3EEvPT0_PKT_PKhT1_iii ; -- Begin function _Z34scaled_masked_softmax_warp_forwardI14__hip_bfloat16S0_fLi3EEvPT0_PKT_PKhT1_iii
	.globl	_Z34scaled_masked_softmax_warp_forwardI14__hip_bfloat16S0_fLi3EEvPT0_PKT_PKhT1_iii
	.p2align	8
	.type	_Z34scaled_masked_softmax_warp_forwardI14__hip_bfloat16S0_fLi3EEvPT0_PKT_PKhT1_iii,@function
_Z34scaled_masked_softmax_warp_forwardI14__hip_bfloat16S0_fLi3EEvPT0_PKT_PKhT1_iii: ; @_Z34scaled_masked_softmax_warp_forwardI14__hip_bfloat16S0_fLi3EEvPT0_PKT_PKhT1_iii
; %bb.0:
	s_load_dword s5, s[0:1], 0x34
	s_load_dwordx4 s[8:11], s[0:1], 0x18
	s_load_dwordx2 s[16:17], s[0:1], 0x28
	s_waitcnt lgkmcnt(0)
	s_lshr_b32 s5, s5, 16
	s_cmp_eq_u32 s11, 1
	s_mov_b32 s11, s2
	s_cbranch_scc1 .LBB14_2
; %bb.1:
	s_mul_i32 s6, s16, s4
	s_add_i32 s11, s6, s2
.LBB14_2:
	s_load_dwordx4 s[12:15], s[0:1], 0x0
	s_load_dwordx2 s[6:7], s[0:1], 0x10
	s_mul_i32 s1, s17, s4
	s_add_i32 s1, s1, s3
	s_mul_i32 s1, s16, s1
	s_and_b32 s0, 0xffff, s5
	s_add_i32 s1, s1, s2
	s_mul_i32 s1, s1, s0
	v_bfe_u32 v4, v0, 10, 10
	v_add_lshl_u32 v2, s1, v4, 1
	v_sub_u32_e32 v1, s9, v2
	v_and_b32_e32 v0, 0x3ff, v0
	v_mad_u64_u32 v[2:3], s[2:3], v2, s10, v[0:1]
	v_ashrrev_i32_e32 v3, 31, v2
	v_cmp_lt_i32_e32 vcc, 0, v1
	v_mov_b32_e32 v9, 0
	v_mov_b32_e32 v8, 0
	s_and_saveexec_b64 s[4:5], vcc
	s_cbranch_execz .LBB14_12
; %bb.3:
	s_mul_i32 s0, s11, s0
	s_waitcnt lgkmcnt(0)
	v_mov_b32_e32 v6, s14
	v_mov_b32_e32 v7, s15
	v_add_u32_e32 v8, s0, v4
	v_lshl_add_u64 v[4:5], v[2:3], 1, v[6:7]
	v_mul_lo_u32 v6, s10, v8
	v_lshl_add_u32 v6, v6, 1, v0
	v_ashrrev_i32_e32 v7, 31, v6
	v_lshl_add_u64 v[6:7], s[6:7], 0, v[6:7]
	v_cmp_le_i32_e64 s[0:1], s10, v0
	v_cmp_gt_i32_e64 s[2:3], s10, v0
	v_mov_b32_e32 v9, 0
	v_mov_b32_e32 v8, 0xff800000
	s_and_saveexec_b64 s[6:7], s[2:3]
	s_cbranch_execz .LBB14_5
; %bb.4:
	global_load_ushort v8, v[4:5], off
	global_load_ubyte v10, v[6:7], off
	v_mov_b32_e32 v11, 0xc61c4000
	s_waitcnt vmcnt(1)
	v_lshlrev_b32_e32 v8, 16, v8
	v_mul_f32_e32 v8, s8, v8
	s_waitcnt vmcnt(0)
	v_cmp_ne_u16_e64 s[2:3], 1, v10
	s_nop 1
	v_cndmask_b32_e64 v8, v11, v8, s[2:3]
.LBB14_5:
	s_or_b64 exec, exec, s[6:7]
	v_cmp_ne_u32_e64 s[2:3], 1, v1
	s_and_saveexec_b64 s[6:7], s[2:3]
	s_xor_b64 s[2:3], exec, s[6:7]
	s_cbranch_execz .LBB14_11
; %bb.6:
	s_and_saveexec_b64 s[6:7], s[0:1]
	s_xor_b64 s[0:1], exec, s[6:7]
; %bb.7:
                                        ; implicit-def: $vgpr6_vgpr7
                                        ; implicit-def: $vgpr4_vgpr5
; %bb.8:
	s_or_saveexec_b64 s[6:7], s[0:1]
	v_mov_b32_e32 v9, 0xff800000
	s_xor_b64 exec, exec, s[6:7]
	s_cbranch_execz .LBB14_10
; %bb.9:
	s_mov_b32 s11, 0
	v_lshl_add_u64 v[4:5], s[10:11], 1, v[4:5]
	global_load_ushort v9, v[4:5], off
	v_lshl_add_u64 v[4:5], v[6:7], 0, s[10:11]
	global_load_ubyte v4, v[4:5], off
	v_mov_b32_e32 v5, 0xc61c4000
	s_waitcnt vmcnt(1)
	v_lshlrev_b32_e32 v6, 16, v9
	v_mul_f32_e32 v6, s8, v6
	s_waitcnt vmcnt(0)
	v_cmp_eq_u16_e64 s[0:1], 1, v4
	s_nop 1
	v_cndmask_b32_e64 v9, v6, v5, s[0:1]
.LBB14_10:
	s_or_b64 exec, exec, s[6:7]
.LBB14_11:
	s_or_b64 exec, exec, s[2:3]
.LBB14_12:
	s_or_b64 exec, exec, s[4:5]
	v_mbcnt_lo_u32_b32 v4, -1, 0
	v_mbcnt_hi_u32_b32 v4, -1, v4
	v_and_b32_e32 v5, 0x78, v4
	v_add_u32_e32 v5, 8, v5
	v_xor_b32_e32 v6, 4, v4
	v_cmp_lt_i32_e64 s[0:1], v6, v5
	v_xor_b32_e32 v11, 2, v4
	v_xor_b32_e32 v12, 1, v4
	v_cndmask_b32_e64 v6, v4, v6, s[0:1]
	v_lshlrev_b32_e32 v7, 2, v6
	ds_bpermute_b32 v6, v7, v8
	v_cmp_lt_i32_e64 s[0:1], v11, v5
	ds_bpermute_b32 v10, v7, v9
	s_mov_b32 s2, 0x3fb8aa3b
	v_cndmask_b32_e64 v11, v4, v11, s[0:1]
	v_cmp_lt_i32_e64 s[0:1], v12, v5
	v_lshlrev_b32_e32 v11, 2, v11
	s_mov_b32 s3, 0xc2ce8ed0
	v_cndmask_b32_e64 v4, v4, v12, s[0:1]
	s_waitcnt lgkmcnt(0)
	v_cmp_lt_f32_e64 s[0:1], v8, v6
	v_lshlrev_b32_e32 v12, 2, v4
	s_mov_b32 s4, 0x42b17218
	v_cndmask_b32_e64 v5, v8, v6, s[0:1]
	ds_bpermute_b32 v6, v11, v5
	v_cmp_lt_f32_e64 s[0:1], v9, v10
	v_mov_b32_e32 v15, 0x7f800000
	s_nop 0
	v_cndmask_b32_e64 v4, v9, v10, s[0:1]
	s_waitcnt lgkmcnt(0)
	v_cmp_lt_f32_e64 s[0:1], v5, v6
	ds_bpermute_b32 v10, v11, v4
	s_nop 0
	v_cndmask_b32_e64 v5, v5, v6, s[0:1]
	ds_bpermute_b32 v6, v12, v5
	s_waitcnt lgkmcnt(1)
	v_cmp_lt_f32_e64 s[0:1], v4, v10
	s_nop 1
	v_cndmask_b32_e64 v4, v4, v10, s[0:1]
	s_waitcnt lgkmcnt(0)
	v_cmp_lt_f32_e64 s[0:1], v5, v6
	ds_bpermute_b32 v10, v12, v4
	s_nop 0
	v_cndmask_b32_e64 v5, v5, v6, s[0:1]
	v_sub_f32_e32 v6, v8, v5
	v_mul_f32_e32 v8, 0x3fb8aa3b, v6
	v_fma_f32 v13, v6, s2, -v8
	v_rndne_f32_e32 v14, v8
	v_fmac_f32_e32 v13, 0x32a5705f, v6
	v_sub_f32_e32 v8, v8, v14
	v_add_f32_e32 v8, v8, v13
	v_exp_f32_e32 v8, v8
	v_cvt_i32_f32_e32 v13, v14
	s_waitcnt lgkmcnt(0)
	v_cmp_lt_f32_e64 s[0:1], v4, v10
	v_ldexp_f32 v8, v8, v13
	s_nop 0
	v_cndmask_b32_e64 v4, v4, v10, s[0:1]
	v_sub_f32_e32 v10, v9, v4
	v_mul_f32_e32 v9, 0x3fb8aa3b, v10
	v_fma_f32 v13, v10, s2, -v9
	v_rndne_f32_e32 v14, v9
	v_fmac_f32_e32 v13, 0x32a5705f, v10
	v_sub_f32_e32 v9, v9, v14
	v_add_f32_e32 v9, v9, v13
	v_exp_f32_e32 v13, v9
	v_cvt_i32_f32_e32 v14, v14
	v_cmp_ngt_f32_e64 s[0:1], s3, v6
	s_nop 1
	v_cndmask_b32_e64 v8, 0, v8, s[0:1]
	v_cmp_nlt_f32_e64 s[0:1], s4, v6
	v_ldexp_f32 v6, v13, v14
	s_nop 0
	v_cndmask_b32_e64 v9, v15, v8, s[0:1]
	v_cmp_ngt_f32_e64 s[0:1], s3, v10
	ds_bpermute_b32 v8, v7, v9
	s_waitcnt lgkmcnt(0)
	v_add_f32_e32 v8, v9, v8
	v_cndmask_b32_e64 v6, 0, v6, s[0:1]
	v_cmp_nlt_f32_e64 s[0:1], s4, v10
	ds_bpermute_b32 v10, v11, v8
	s_waitcnt lgkmcnt(0)
	v_add_f32_e32 v10, v8, v10
	v_cndmask_b32_e64 v6, v15, v6, s[0:1]
	ds_bpermute_b32 v7, v7, v6
	s_waitcnt lgkmcnt(0)
	v_add_f32_e32 v7, v6, v7
	ds_bpermute_b32 v11, v11, v7
	s_waitcnt lgkmcnt(0)
	v_add_f32_e32 v7, v7, v11
	ds_bpermute_b32 v11, v12, v10
	ds_bpermute_b32 v8, v12, v7
	s_and_saveexec_b64 s[0:1], vcc
	s_cbranch_execz .LBB14_17
; %bb.13:
	v_mov_b32_e32 v12, s12
	v_mov_b32_e32 v13, s13
	v_lshl_add_u64 v[2:3], v[2:3], 1, v[12:13]
	v_cmp_le_i32_e64 s[0:1], s10, v0
	v_cmp_gt_i32_e32 vcc, s10, v0
	s_and_saveexec_b64 s[2:3], vcc
	s_cbranch_execz .LBB14_15
; %bb.14:
	s_waitcnt lgkmcnt(1)
	v_add_f32_e32 v0, v10, v11
	v_div_scale_f32 v10, s[4:5], v0, v0, v9
	v_rcp_f32_e32 v11, v10
	s_mov_b32 s4, 0xc61c4000
	v_fma_f32 v12, -v10, v11, 1.0
	v_fmac_f32_e32 v11, v12, v11
	v_div_scale_f32 v12, vcc, v9, v0, v9
	v_mul_f32_e32 v13, v12, v11
	v_fma_f32 v14, -v10, v13, v12
	v_fmac_f32_e32 v13, v14, v11
	v_fma_f32 v10, -v10, v13, v12
	v_div_fmas_f32 v10, v10, v11, v13
	v_div_fixup_f32 v0, v10, v0, v9
	v_cvt_pk_bf16_f32 v0, v0, s0
	v_cmp_neq_f32_e32 vcc, s4, v5
	s_nop 1
	v_cndmask_b32_e32 v0, 0, v0, vcc
	global_store_short v[2:3], v0, off
.LBB14_15:
	s_or_b64 exec, exec, s[2:3]
	v_cmp_ne_u32_e32 vcc, 1, v1
	s_xor_b64 s[0:1], s[0:1], -1
	s_and_b64 s[0:1], vcc, s[0:1]
	s_and_saveexec_b64 s[2:3], s[0:1]
	s_xor_b64 s[2:3], exec, s[2:3]
	s_cbranch_execz .LBB14_17
; %bb.16:
	s_waitcnt lgkmcnt(0)
	v_add_f32_e32 v0, v7, v8
	v_div_scale_f32 v1, s[0:1], v0, v0, v6
	v_rcp_f32_e32 v5, v1
	s_mov_b32 s0, 0xc61c4000
	s_mov_b32 s11, 0
	v_fma_f32 v7, -v1, v5, 1.0
	v_fmac_f32_e32 v5, v7, v5
	v_div_scale_f32 v7, vcc, v6, v0, v6
	v_mul_f32_e32 v8, v7, v5
	v_fma_f32 v9, -v1, v8, v7
	v_fmac_f32_e32 v8, v9, v5
	v_fma_f32 v1, -v1, v8, v7
	v_div_fmas_f32 v1, v1, v5, v8
	v_div_fixup_f32 v0, v1, v0, v6
	v_cvt_pk_bf16_f32 v5, v0, s0
	v_cmp_neq_f32_e32 vcc, s0, v4
	v_lshl_add_u64 v[0:1], s[10:11], 1, v[2:3]
	s_nop 0
	v_cndmask_b32_e32 v2, 0, v5, vcc
	global_store_short v[0:1], v2, off
.LBB14_17:
	s_endpgm
	.section	.rodata,"a",@progbits
	.p2align	6, 0x0
	.amdhsa_kernel _Z34scaled_masked_softmax_warp_forwardI14__hip_bfloat16S0_fLi3EEvPT0_PKT_PKhT1_iii
		.amdhsa_group_segment_fixed_size 0
		.amdhsa_private_segment_fixed_size 0
		.amdhsa_kernarg_size 296
		.amdhsa_user_sgpr_count 2
		.amdhsa_user_sgpr_dispatch_ptr 0
		.amdhsa_user_sgpr_queue_ptr 0
		.amdhsa_user_sgpr_kernarg_segment_ptr 1
		.amdhsa_user_sgpr_dispatch_id 0
		.amdhsa_user_sgpr_kernarg_preload_length 0
		.amdhsa_user_sgpr_kernarg_preload_offset 0
		.amdhsa_user_sgpr_private_segment_size 0
		.amdhsa_uses_dynamic_stack 0
		.amdhsa_enable_private_segment 0
		.amdhsa_system_sgpr_workgroup_id_x 1
		.amdhsa_system_sgpr_workgroup_id_y 1
		.amdhsa_system_sgpr_workgroup_id_z 1
		.amdhsa_system_sgpr_workgroup_info 0
		.amdhsa_system_vgpr_workitem_id 1
		.amdhsa_next_free_vgpr 16
		.amdhsa_next_free_sgpr 18
		.amdhsa_accum_offset 16
		.amdhsa_reserve_vcc 1
		.amdhsa_float_round_mode_32 0
		.amdhsa_float_round_mode_16_64 0
		.amdhsa_float_denorm_mode_32 3
		.amdhsa_float_denorm_mode_16_64 3
		.amdhsa_dx10_clamp 1
		.amdhsa_ieee_mode 1
		.amdhsa_fp16_overflow 0
		.amdhsa_tg_split 0
		.amdhsa_exception_fp_ieee_invalid_op 0
		.amdhsa_exception_fp_denorm_src 0
		.amdhsa_exception_fp_ieee_div_zero 0
		.amdhsa_exception_fp_ieee_overflow 0
		.amdhsa_exception_fp_ieee_underflow 0
		.amdhsa_exception_fp_ieee_inexact 0
		.amdhsa_exception_int_div_zero 0
	.end_amdhsa_kernel
	.section	.text._Z34scaled_masked_softmax_warp_forwardI14__hip_bfloat16S0_fLi3EEvPT0_PKT_PKhT1_iii,"axG",@progbits,_Z34scaled_masked_softmax_warp_forwardI14__hip_bfloat16S0_fLi3EEvPT0_PKT_PKhT1_iii,comdat
.Lfunc_end14:
	.size	_Z34scaled_masked_softmax_warp_forwardI14__hip_bfloat16S0_fLi3EEvPT0_PKT_PKhT1_iii, .Lfunc_end14-_Z34scaled_masked_softmax_warp_forwardI14__hip_bfloat16S0_fLi3EEvPT0_PKT_PKhT1_iii
                                        ; -- End function
	.set _Z34scaled_masked_softmax_warp_forwardI14__hip_bfloat16S0_fLi3EEvPT0_PKT_PKhT1_iii.num_vgpr, 16
	.set _Z34scaled_masked_softmax_warp_forwardI14__hip_bfloat16S0_fLi3EEvPT0_PKT_PKhT1_iii.num_agpr, 0
	.set _Z34scaled_masked_softmax_warp_forwardI14__hip_bfloat16S0_fLi3EEvPT0_PKT_PKhT1_iii.numbered_sgpr, 18
	.set _Z34scaled_masked_softmax_warp_forwardI14__hip_bfloat16S0_fLi3EEvPT0_PKT_PKhT1_iii.num_named_barrier, 0
	.set _Z34scaled_masked_softmax_warp_forwardI14__hip_bfloat16S0_fLi3EEvPT0_PKT_PKhT1_iii.private_seg_size, 0
	.set _Z34scaled_masked_softmax_warp_forwardI14__hip_bfloat16S0_fLi3EEvPT0_PKT_PKhT1_iii.uses_vcc, 1
	.set _Z34scaled_masked_softmax_warp_forwardI14__hip_bfloat16S0_fLi3EEvPT0_PKT_PKhT1_iii.uses_flat_scratch, 0
	.set _Z34scaled_masked_softmax_warp_forwardI14__hip_bfloat16S0_fLi3EEvPT0_PKT_PKhT1_iii.has_dyn_sized_stack, 0
	.set _Z34scaled_masked_softmax_warp_forwardI14__hip_bfloat16S0_fLi3EEvPT0_PKT_PKhT1_iii.has_recursion, 0
	.set _Z34scaled_masked_softmax_warp_forwardI14__hip_bfloat16S0_fLi3EEvPT0_PKT_PKhT1_iii.has_indirect_call, 0
	.section	.AMDGPU.csdata,"",@progbits
; Kernel info:
; codeLenInByte = 1352
; TotalNumSgprs: 24
; NumVgprs: 16
; NumAgprs: 0
; TotalNumVgprs: 16
; ScratchSize: 0
; MemoryBound: 0
; FloatMode: 240
; IeeeMode: 1
; LDSByteSize: 0 bytes/workgroup (compile time only)
; SGPRBlocks: 2
; VGPRBlocks: 1
; NumSGPRsForWavesPerEU: 24
; NumVGPRsForWavesPerEU: 16
; AccumOffset: 16
; Occupancy: 8
; WaveLimiterHint : 0
; COMPUTE_PGM_RSRC2:SCRATCH_EN: 0
; COMPUTE_PGM_RSRC2:USER_SGPR: 2
; COMPUTE_PGM_RSRC2:TRAP_HANDLER: 0
; COMPUTE_PGM_RSRC2:TGID_X_EN: 1
; COMPUTE_PGM_RSRC2:TGID_Y_EN: 1
; COMPUTE_PGM_RSRC2:TGID_Z_EN: 1
; COMPUTE_PGM_RSRC2:TIDIG_COMP_CNT: 1
; COMPUTE_PGM_RSRC3_GFX90A:ACCUM_OFFSET: 3
; COMPUTE_PGM_RSRC3_GFX90A:TG_SPLIT: 0
	.section	.text._Z34scaled_masked_softmax_warp_forwardI14__hip_bfloat16S0_fLi4EEvPT0_PKT_PKhT1_iii,"axG",@progbits,_Z34scaled_masked_softmax_warp_forwardI14__hip_bfloat16S0_fLi4EEvPT0_PKT_PKhT1_iii,comdat
	.protected	_Z34scaled_masked_softmax_warp_forwardI14__hip_bfloat16S0_fLi4EEvPT0_PKT_PKhT1_iii ; -- Begin function _Z34scaled_masked_softmax_warp_forwardI14__hip_bfloat16S0_fLi4EEvPT0_PKT_PKhT1_iii
	.globl	_Z34scaled_masked_softmax_warp_forwardI14__hip_bfloat16S0_fLi4EEvPT0_PKT_PKhT1_iii
	.p2align	8
	.type	_Z34scaled_masked_softmax_warp_forwardI14__hip_bfloat16S0_fLi4EEvPT0_PKT_PKhT1_iii,@function
_Z34scaled_masked_softmax_warp_forwardI14__hip_bfloat16S0_fLi4EEvPT0_PKT_PKhT1_iii: ; @_Z34scaled_masked_softmax_warp_forwardI14__hip_bfloat16S0_fLi4EEvPT0_PKT_PKhT1_iii
; %bb.0:
	s_load_dword s5, s[0:1], 0x34
	s_load_dwordx4 s[8:11], s[0:1], 0x18
	s_load_dwordx2 s[16:17], s[0:1], 0x28
	s_waitcnt lgkmcnt(0)
	s_lshr_b32 s5, s5, 16
	s_cmp_eq_u32 s11, 1
	s_mov_b32 s11, s2
	s_cbranch_scc1 .LBB15_2
; %bb.1:
	s_mul_i32 s6, s16, s4
	s_add_i32 s11, s6, s2
.LBB15_2:
	s_load_dwordx4 s[12:15], s[0:1], 0x0
	s_load_dwordx2 s[6:7], s[0:1], 0x10
	s_mul_i32 s1, s17, s4
	s_add_i32 s1, s1, s3
	s_mul_i32 s1, s16, s1
	s_and_b32 s0, 0xffff, s5
	s_add_i32 s1, s1, s2
	s_mul_i32 s1, s1, s0
	v_bfe_u32 v4, v0, 10, 10
	v_add_lshl_u32 v2, s1, v4, 1
	v_sub_u32_e32 v1, s9, v2
	v_and_b32_e32 v0, 0x3ff, v0
	v_mad_u64_u32 v[2:3], s[2:3], v2, s10, v[0:1]
	v_ashrrev_i32_e32 v3, 31, v2
	v_cmp_lt_i32_e32 vcc, 0, v1
	v_mov_b32_e32 v9, 0
	v_mov_b32_e32 v8, 0
	s_and_saveexec_b64 s[4:5], vcc
	s_cbranch_execz .LBB15_12
; %bb.3:
	s_mul_i32 s0, s11, s0
	s_waitcnt lgkmcnt(0)
	v_mov_b32_e32 v6, s14
	v_mov_b32_e32 v7, s15
	v_add_u32_e32 v8, s0, v4
	v_lshl_add_u64 v[4:5], v[2:3], 1, v[6:7]
	v_mul_lo_u32 v6, s10, v8
	v_lshl_add_u32 v6, v6, 1, v0
	v_ashrrev_i32_e32 v7, 31, v6
	v_lshl_add_u64 v[6:7], s[6:7], 0, v[6:7]
	v_cmp_le_i32_e64 s[0:1], s10, v0
	v_cmp_gt_i32_e64 s[2:3], s10, v0
	v_mov_b32_e32 v9, 0
	v_mov_b32_e32 v8, 0xff800000
	s_and_saveexec_b64 s[6:7], s[2:3]
	s_cbranch_execz .LBB15_5
; %bb.4:
	global_load_ushort v8, v[4:5], off
	global_load_ubyte v10, v[6:7], off
	v_mov_b32_e32 v11, 0xc61c4000
	s_waitcnt vmcnt(1)
	v_lshlrev_b32_e32 v8, 16, v8
	v_mul_f32_e32 v8, s8, v8
	s_waitcnt vmcnt(0)
	v_cmp_ne_u16_e64 s[2:3], 1, v10
	s_nop 1
	v_cndmask_b32_e64 v8, v11, v8, s[2:3]
.LBB15_5:
	s_or_b64 exec, exec, s[6:7]
	v_cmp_ne_u32_e64 s[2:3], 1, v1
	s_and_saveexec_b64 s[6:7], s[2:3]
	s_xor_b64 s[2:3], exec, s[6:7]
	s_cbranch_execz .LBB15_11
; %bb.6:
	s_and_saveexec_b64 s[6:7], s[0:1]
	s_xor_b64 s[0:1], exec, s[6:7]
; %bb.7:
                                        ; implicit-def: $vgpr6_vgpr7
                                        ; implicit-def: $vgpr4_vgpr5
; %bb.8:
	s_or_saveexec_b64 s[6:7], s[0:1]
	v_mov_b32_e32 v9, 0xff800000
	s_xor_b64 exec, exec, s[6:7]
	s_cbranch_execz .LBB15_10
; %bb.9:
	s_mov_b32 s11, 0
	v_lshl_add_u64 v[4:5], s[10:11], 1, v[4:5]
	global_load_ushort v9, v[4:5], off
	v_lshl_add_u64 v[4:5], v[6:7], 0, s[10:11]
	global_load_ubyte v4, v[4:5], off
	v_mov_b32_e32 v5, 0xc61c4000
	s_waitcnt vmcnt(1)
	v_lshlrev_b32_e32 v6, 16, v9
	v_mul_f32_e32 v6, s8, v6
	s_waitcnt vmcnt(0)
	v_cmp_eq_u16_e64 s[0:1], 1, v4
	s_nop 1
	v_cndmask_b32_e64 v9, v6, v5, s[0:1]
.LBB15_10:
	s_or_b64 exec, exec, s[6:7]
.LBB15_11:
	s_or_b64 exec, exec, s[2:3]
.LBB15_12:
	s_or_b64 exec, exec, s[4:5]
	v_mbcnt_lo_u32_b32 v4, -1, 0
	v_mbcnt_hi_u32_b32 v4, -1, v4
	v_and_b32_e32 v5, 0x70, v4
	v_add_u32_e32 v5, 16, v5
	v_xor_b32_e32 v6, 8, v4
	v_cmp_lt_i32_e64 s[0:1], v6, v5
	v_xor_b32_e32 v11, 4, v4
	v_xor_b32_e32 v12, 2, v4
	v_cndmask_b32_e64 v6, v4, v6, s[0:1]
	v_lshlrev_b32_e32 v10, 2, v6
	ds_bpermute_b32 v6, v10, v8
	v_cmp_lt_i32_e64 s[0:1], v11, v5
	ds_bpermute_b32 v7, v10, v9
	v_xor_b32_e32 v13, 1, v4
	v_cndmask_b32_e64 v11, v4, v11, s[0:1]
	v_cmp_lt_i32_e64 s[0:1], v12, v5
	v_lshlrev_b32_e32 v11, 2, v11
	s_mov_b32 s2, 0x3fb8aa3b
	v_cndmask_b32_e64 v12, v4, v12, s[0:1]
	s_waitcnt lgkmcnt(0)
	v_cmp_lt_f32_e64 s[0:1], v8, v6
	v_lshlrev_b32_e32 v12, 2, v12
	s_mov_b32 s3, 0xc2ce8ed0
	v_cndmask_b32_e64 v6, v8, v6, s[0:1]
	ds_bpermute_b32 v14, v11, v6
	v_cmp_lt_i32_e64 s[0:1], v13, v5
	s_mov_b32 s4, 0x42b17218
	s_nop 0
	v_cndmask_b32_e64 v4, v4, v13, s[0:1]
	v_cmp_lt_f32_e64 s[0:1], v9, v7
	s_nop 1
	v_cndmask_b32_e64 v5, v9, v7, s[0:1]
	s_waitcnt lgkmcnt(0)
	v_cmp_lt_f32_e64 s[0:1], v6, v14
	ds_bpermute_b32 v7, v11, v5
	s_nop 0
	v_cndmask_b32_e64 v6, v6, v14, s[0:1]
	ds_bpermute_b32 v13, v12, v6
	v_lshlrev_b32_e32 v14, 2, v4
	s_waitcnt lgkmcnt(1)
	v_cmp_lt_f32_e64 s[0:1], v5, v7
	s_nop 1
	v_cndmask_b32_e64 v4, v5, v7, s[0:1]
	s_waitcnt lgkmcnt(0)
	v_cmp_lt_f32_e64 s[0:1], v6, v13
	ds_bpermute_b32 v5, v12, v4
	s_nop 0
	v_cndmask_b32_e64 v6, v6, v13, s[0:1]
	ds_bpermute_b32 v7, v14, v6
	s_waitcnt lgkmcnt(1)
	v_cmp_lt_f32_e64 s[0:1], v4, v5
	s_nop 1
	v_cndmask_b32_e64 v4, v4, v5, s[0:1]
	s_waitcnt lgkmcnt(0)
	v_cmp_lt_f32_e64 s[0:1], v6, v7
	ds_bpermute_b32 v13, v14, v4
	s_nop 0
	v_cndmask_b32_e64 v5, v6, v7, s[0:1]
	v_sub_f32_e32 v6, v8, v5
	v_mul_f32_e32 v7, 0x3fb8aa3b, v6
	v_fma_f32 v8, v6, s2, -v7
	v_rndne_f32_e32 v15, v7
	v_fmac_f32_e32 v8, 0x32a5705f, v6
	v_sub_f32_e32 v7, v7, v15
	v_add_f32_e32 v7, v7, v8
	v_exp_f32_e32 v7, v7
	v_cvt_i32_f32_e32 v8, v15
	s_waitcnt lgkmcnt(0)
	v_cmp_lt_f32_e64 s[0:1], v4, v13
	v_ldexp_f32 v7, v7, v8
	s_nop 0
	v_cndmask_b32_e64 v4, v4, v13, s[0:1]
	v_sub_f32_e32 v8, v9, v4
	v_mul_f32_e32 v9, 0x3fb8aa3b, v8
	v_fma_f32 v13, v8, s2, -v9
	v_rndne_f32_e32 v15, v9
	v_fmac_f32_e32 v13, 0x32a5705f, v8
	v_sub_f32_e32 v9, v9, v15
	v_add_f32_e32 v9, v9, v13
	v_exp_f32_e32 v9, v9
	v_cvt_i32_f32_e32 v13, v15
	v_cmp_ngt_f32_e64 s[0:1], s3, v6
	v_mov_b32_e32 v15, 0x7f800000
	s_nop 0
	v_cndmask_b32_e64 v7, 0, v7, s[0:1]
	v_cmp_nlt_f32_e64 s[0:1], s4, v6
	v_ldexp_f32 v6, v9, v13
	s_nop 0
	v_cndmask_b32_e64 v7, v15, v7, s[0:1]
	v_cmp_ngt_f32_e64 s[0:1], s3, v8
	s_nop 1
	v_cndmask_b32_e64 v6, 0, v6, s[0:1]
	v_cmp_nlt_f32_e64 s[0:1], s4, v8
	ds_bpermute_b32 v8, v10, v7
	s_waitcnt lgkmcnt(0)
	v_add_f32_e32 v8, v7, v8
	v_cndmask_b32_e64 v6, v15, v6, s[0:1]
	ds_bpermute_b32 v9, v10, v6
	ds_bpermute_b32 v10, v11, v8
	s_waitcnt lgkmcnt(1)
	v_add_f32_e32 v9, v6, v9
	ds_bpermute_b32 v11, v11, v9
	s_waitcnt lgkmcnt(1)
	v_add_f32_e32 v8, v8, v10
	;; [unrolled: 3-line block ×4, first 2 shown]
	s_waitcnt lgkmcnt(0)
	v_add_f32_e32 v8, v9, v11
	ds_bpermute_b32 v11, v14, v10
	ds_bpermute_b32 v9, v14, v8
	s_and_saveexec_b64 s[0:1], vcc
	s_cbranch_execz .LBB15_17
; %bb.13:
	v_mov_b32_e32 v12, s12
	v_mov_b32_e32 v13, s13
	v_lshl_add_u64 v[2:3], v[2:3], 1, v[12:13]
	v_cmp_le_i32_e64 s[0:1], s10, v0
	v_cmp_gt_i32_e32 vcc, s10, v0
	s_and_saveexec_b64 s[2:3], vcc
	s_cbranch_execz .LBB15_15
; %bb.14:
	s_waitcnt lgkmcnt(1)
	v_add_f32_e32 v0, v10, v11
	v_div_scale_f32 v10, s[4:5], v0, v0, v7
	v_rcp_f32_e32 v11, v10
	s_mov_b32 s4, 0xc61c4000
	v_fma_f32 v12, -v10, v11, 1.0
	v_fmac_f32_e32 v11, v12, v11
	v_div_scale_f32 v12, vcc, v7, v0, v7
	v_mul_f32_e32 v13, v12, v11
	v_fma_f32 v14, -v10, v13, v12
	v_fmac_f32_e32 v13, v14, v11
	v_fma_f32 v10, -v10, v13, v12
	v_div_fmas_f32 v10, v10, v11, v13
	v_div_fixup_f32 v0, v10, v0, v7
	v_cvt_pk_bf16_f32 v0, v0, s0
	v_cmp_neq_f32_e32 vcc, s4, v5
	s_nop 1
	v_cndmask_b32_e32 v0, 0, v0, vcc
	global_store_short v[2:3], v0, off
.LBB15_15:
	s_or_b64 exec, exec, s[2:3]
	v_cmp_ne_u32_e32 vcc, 1, v1
	s_xor_b64 s[0:1], s[0:1], -1
	s_and_b64 s[0:1], vcc, s[0:1]
	s_and_saveexec_b64 s[2:3], s[0:1]
	s_xor_b64 s[2:3], exec, s[2:3]
	s_cbranch_execz .LBB15_17
; %bb.16:
	s_waitcnt lgkmcnt(0)
	v_add_f32_e32 v0, v8, v9
	v_div_scale_f32 v1, s[0:1], v0, v0, v6
	v_rcp_f32_e32 v5, v1
	s_mov_b32 s0, 0xc61c4000
	s_mov_b32 s11, 0
	v_fma_f32 v7, -v1, v5, 1.0
	v_fmac_f32_e32 v5, v7, v5
	v_div_scale_f32 v7, vcc, v6, v0, v6
	v_mul_f32_e32 v8, v7, v5
	v_fma_f32 v9, -v1, v8, v7
	v_fmac_f32_e32 v8, v9, v5
	v_fma_f32 v1, -v1, v8, v7
	v_div_fmas_f32 v1, v1, v5, v8
	v_div_fixup_f32 v0, v1, v0, v6
	v_cvt_pk_bf16_f32 v5, v0, s0
	v_cmp_neq_f32_e32 vcc, s0, v4
	v_lshl_add_u64 v[0:1], s[10:11], 1, v[2:3]
	s_nop 0
	v_cndmask_b32_e32 v2, 0, v5, vcc
	global_store_short v[0:1], v2, off
.LBB15_17:
	s_endpgm
	.section	.rodata,"a",@progbits
	.p2align	6, 0x0
	.amdhsa_kernel _Z34scaled_masked_softmax_warp_forwardI14__hip_bfloat16S0_fLi4EEvPT0_PKT_PKhT1_iii
		.amdhsa_group_segment_fixed_size 0
		.amdhsa_private_segment_fixed_size 0
		.amdhsa_kernarg_size 296
		.amdhsa_user_sgpr_count 2
		.amdhsa_user_sgpr_dispatch_ptr 0
		.amdhsa_user_sgpr_queue_ptr 0
		.amdhsa_user_sgpr_kernarg_segment_ptr 1
		.amdhsa_user_sgpr_dispatch_id 0
		.amdhsa_user_sgpr_kernarg_preload_length 0
		.amdhsa_user_sgpr_kernarg_preload_offset 0
		.amdhsa_user_sgpr_private_segment_size 0
		.amdhsa_uses_dynamic_stack 0
		.amdhsa_enable_private_segment 0
		.amdhsa_system_sgpr_workgroup_id_x 1
		.amdhsa_system_sgpr_workgroup_id_y 1
		.amdhsa_system_sgpr_workgroup_id_z 1
		.amdhsa_system_sgpr_workgroup_info 0
		.amdhsa_system_vgpr_workitem_id 1
		.amdhsa_next_free_vgpr 16
		.amdhsa_next_free_sgpr 18
		.amdhsa_accum_offset 16
		.amdhsa_reserve_vcc 1
		.amdhsa_float_round_mode_32 0
		.amdhsa_float_round_mode_16_64 0
		.amdhsa_float_denorm_mode_32 3
		.amdhsa_float_denorm_mode_16_64 3
		.amdhsa_dx10_clamp 1
		.amdhsa_ieee_mode 1
		.amdhsa_fp16_overflow 0
		.amdhsa_tg_split 0
		.amdhsa_exception_fp_ieee_invalid_op 0
		.amdhsa_exception_fp_denorm_src 0
		.amdhsa_exception_fp_ieee_div_zero 0
		.amdhsa_exception_fp_ieee_overflow 0
		.amdhsa_exception_fp_ieee_underflow 0
		.amdhsa_exception_fp_ieee_inexact 0
		.amdhsa_exception_int_div_zero 0
	.end_amdhsa_kernel
	.section	.text._Z34scaled_masked_softmax_warp_forwardI14__hip_bfloat16S0_fLi4EEvPT0_PKT_PKhT1_iii,"axG",@progbits,_Z34scaled_masked_softmax_warp_forwardI14__hip_bfloat16S0_fLi4EEvPT0_PKT_PKhT1_iii,comdat
.Lfunc_end15:
	.size	_Z34scaled_masked_softmax_warp_forwardI14__hip_bfloat16S0_fLi4EEvPT0_PKT_PKhT1_iii, .Lfunc_end15-_Z34scaled_masked_softmax_warp_forwardI14__hip_bfloat16S0_fLi4EEvPT0_PKT_PKhT1_iii
                                        ; -- End function
	.set _Z34scaled_masked_softmax_warp_forwardI14__hip_bfloat16S0_fLi4EEvPT0_PKT_PKhT1_iii.num_vgpr, 16
	.set _Z34scaled_masked_softmax_warp_forwardI14__hip_bfloat16S0_fLi4EEvPT0_PKT_PKhT1_iii.num_agpr, 0
	.set _Z34scaled_masked_softmax_warp_forwardI14__hip_bfloat16S0_fLi4EEvPT0_PKT_PKhT1_iii.numbered_sgpr, 18
	.set _Z34scaled_masked_softmax_warp_forwardI14__hip_bfloat16S0_fLi4EEvPT0_PKT_PKhT1_iii.num_named_barrier, 0
	.set _Z34scaled_masked_softmax_warp_forwardI14__hip_bfloat16S0_fLi4EEvPT0_PKT_PKhT1_iii.private_seg_size, 0
	.set _Z34scaled_masked_softmax_warp_forwardI14__hip_bfloat16S0_fLi4EEvPT0_PKT_PKhT1_iii.uses_vcc, 1
	.set _Z34scaled_masked_softmax_warp_forwardI14__hip_bfloat16S0_fLi4EEvPT0_PKT_PKhT1_iii.uses_flat_scratch, 0
	.set _Z34scaled_masked_softmax_warp_forwardI14__hip_bfloat16S0_fLi4EEvPT0_PKT_PKhT1_iii.has_dyn_sized_stack, 0
	.set _Z34scaled_masked_softmax_warp_forwardI14__hip_bfloat16S0_fLi4EEvPT0_PKT_PKhT1_iii.has_recursion, 0
	.set _Z34scaled_masked_softmax_warp_forwardI14__hip_bfloat16S0_fLi4EEvPT0_PKT_PKhT1_iii.has_indirect_call, 0
	.section	.AMDGPU.csdata,"",@progbits
; Kernel info:
; codeLenInByte = 1480
; TotalNumSgprs: 24
; NumVgprs: 16
; NumAgprs: 0
; TotalNumVgprs: 16
; ScratchSize: 0
; MemoryBound: 0
; FloatMode: 240
; IeeeMode: 1
; LDSByteSize: 0 bytes/workgroup (compile time only)
; SGPRBlocks: 2
; VGPRBlocks: 1
; NumSGPRsForWavesPerEU: 24
; NumVGPRsForWavesPerEU: 16
; AccumOffset: 16
; Occupancy: 8
; WaveLimiterHint : 0
; COMPUTE_PGM_RSRC2:SCRATCH_EN: 0
; COMPUTE_PGM_RSRC2:USER_SGPR: 2
; COMPUTE_PGM_RSRC2:TRAP_HANDLER: 0
; COMPUTE_PGM_RSRC2:TGID_X_EN: 1
; COMPUTE_PGM_RSRC2:TGID_Y_EN: 1
; COMPUTE_PGM_RSRC2:TGID_Z_EN: 1
; COMPUTE_PGM_RSRC2:TIDIG_COMP_CNT: 1
; COMPUTE_PGM_RSRC3_GFX90A:ACCUM_OFFSET: 3
; COMPUTE_PGM_RSRC3_GFX90A:TG_SPLIT: 0
	.section	.text._Z34scaled_masked_softmax_warp_forwardI14__hip_bfloat16S0_fLi5EEvPT0_PKT_PKhT1_iii,"axG",@progbits,_Z34scaled_masked_softmax_warp_forwardI14__hip_bfloat16S0_fLi5EEvPT0_PKT_PKhT1_iii,comdat
	.protected	_Z34scaled_masked_softmax_warp_forwardI14__hip_bfloat16S0_fLi5EEvPT0_PKT_PKhT1_iii ; -- Begin function _Z34scaled_masked_softmax_warp_forwardI14__hip_bfloat16S0_fLi5EEvPT0_PKT_PKhT1_iii
	.globl	_Z34scaled_masked_softmax_warp_forwardI14__hip_bfloat16S0_fLi5EEvPT0_PKT_PKhT1_iii
	.p2align	8
	.type	_Z34scaled_masked_softmax_warp_forwardI14__hip_bfloat16S0_fLi5EEvPT0_PKT_PKhT1_iii,@function
_Z34scaled_masked_softmax_warp_forwardI14__hip_bfloat16S0_fLi5EEvPT0_PKT_PKhT1_iii: ; @_Z34scaled_masked_softmax_warp_forwardI14__hip_bfloat16S0_fLi5EEvPT0_PKT_PKhT1_iii
; %bb.0:
	s_load_dword s5, s[0:1], 0x34
	s_load_dwordx4 s[8:11], s[0:1], 0x18
	s_load_dwordx2 s[16:17], s[0:1], 0x28
	s_waitcnt lgkmcnt(0)
	s_lshr_b32 s5, s5, 16
	s_cmp_eq_u32 s11, 1
	s_mov_b32 s11, s2
	s_cbranch_scc1 .LBB16_2
; %bb.1:
	s_mul_i32 s6, s16, s4
	s_add_i32 s11, s6, s2
.LBB16_2:
	s_load_dwordx4 s[12:15], s[0:1], 0x0
	s_load_dwordx2 s[6:7], s[0:1], 0x10
	s_mul_i32 s1, s17, s4
	s_add_i32 s1, s1, s3
	s_mul_i32 s1, s16, s1
	s_and_b32 s0, 0xffff, s5
	s_add_i32 s1, s1, s2
	s_mul_i32 s1, s1, s0
	v_bfe_u32 v4, v0, 10, 10
	v_add_lshl_u32 v2, s1, v4, 1
	v_sub_u32_e32 v1, s9, v2
	v_and_b32_e32 v0, 0x3ff, v0
	v_mad_u64_u32 v[2:3], s[2:3], v2, s10, v[0:1]
	v_ashrrev_i32_e32 v3, 31, v2
	v_cmp_lt_i32_e32 vcc, 0, v1
	v_mov_b32_e32 v9, 0
	v_mov_b32_e32 v8, 0
	s_and_saveexec_b64 s[4:5], vcc
	s_cbranch_execz .LBB16_12
; %bb.3:
	s_mul_i32 s0, s11, s0
	s_waitcnt lgkmcnt(0)
	v_mov_b32_e32 v6, s14
	v_mov_b32_e32 v7, s15
	v_add_u32_e32 v8, s0, v4
	v_lshl_add_u64 v[4:5], v[2:3], 1, v[6:7]
	v_mul_lo_u32 v6, s10, v8
	v_lshl_add_u32 v6, v6, 1, v0
	v_ashrrev_i32_e32 v7, 31, v6
	v_lshl_add_u64 v[6:7], s[6:7], 0, v[6:7]
	v_cmp_le_i32_e64 s[0:1], s10, v0
	v_cmp_gt_i32_e64 s[2:3], s10, v0
	v_mov_b32_e32 v9, 0
	v_mov_b32_e32 v8, 0xff800000
	s_and_saveexec_b64 s[6:7], s[2:3]
	s_cbranch_execz .LBB16_5
; %bb.4:
	global_load_ushort v8, v[4:5], off
	global_load_ubyte v10, v[6:7], off
	v_mov_b32_e32 v11, 0xc61c4000
	s_waitcnt vmcnt(1)
	v_lshlrev_b32_e32 v8, 16, v8
	v_mul_f32_e32 v8, s8, v8
	s_waitcnt vmcnt(0)
	v_cmp_ne_u16_e64 s[2:3], 1, v10
	s_nop 1
	v_cndmask_b32_e64 v8, v11, v8, s[2:3]
.LBB16_5:
	s_or_b64 exec, exec, s[6:7]
	v_cmp_ne_u32_e64 s[2:3], 1, v1
	s_and_saveexec_b64 s[6:7], s[2:3]
	s_xor_b64 s[2:3], exec, s[6:7]
	s_cbranch_execz .LBB16_11
; %bb.6:
	s_and_saveexec_b64 s[6:7], s[0:1]
	s_xor_b64 s[0:1], exec, s[6:7]
; %bb.7:
                                        ; implicit-def: $vgpr6_vgpr7
                                        ; implicit-def: $vgpr4_vgpr5
; %bb.8:
	s_or_saveexec_b64 s[6:7], s[0:1]
	v_mov_b32_e32 v9, 0xff800000
	s_xor_b64 exec, exec, s[6:7]
	s_cbranch_execz .LBB16_10
; %bb.9:
	s_mov_b32 s11, 0
	v_lshl_add_u64 v[4:5], s[10:11], 1, v[4:5]
	global_load_ushort v9, v[4:5], off
	v_lshl_add_u64 v[4:5], v[6:7], 0, s[10:11]
	global_load_ubyte v4, v[4:5], off
	v_mov_b32_e32 v5, 0xc61c4000
	s_waitcnt vmcnt(1)
	v_lshlrev_b32_e32 v6, 16, v9
	v_mul_f32_e32 v6, s8, v6
	s_waitcnt vmcnt(0)
	v_cmp_eq_u16_e64 s[0:1], 1, v4
	s_nop 1
	v_cndmask_b32_e64 v9, v6, v5, s[0:1]
.LBB16_10:
	s_or_b64 exec, exec, s[6:7]
.LBB16_11:
	s_or_b64 exec, exec, s[2:3]
.LBB16_12:
	s_or_b64 exec, exec, s[4:5]
	v_mbcnt_lo_u32_b32 v4, -1, 0
	v_mbcnt_hi_u32_b32 v4, -1, v4
	v_and_b32_e32 v5, 0x60, v4
	v_add_u32_e32 v5, 32, v5
	v_xor_b32_e32 v6, 16, v4
	v_cmp_lt_i32_e64 s[0:1], v6, v5
	v_xor_b32_e32 v11, 8, v4
	v_xor_b32_e32 v12, 4, v4
	v_cndmask_b32_e64 v6, v4, v6, s[0:1]
	v_lshlrev_b32_e32 v10, 2, v6
	ds_bpermute_b32 v6, v10, v8
	v_cmp_lt_i32_e64 s[0:1], v11, v5
	v_xor_b32_e32 v13, 2, v4
	ds_bpermute_b32 v7, v10, v9
	v_cndmask_b32_e64 v11, v4, v11, s[0:1]
	v_cmp_lt_i32_e64 s[0:1], v12, v5
	v_lshlrev_b32_e32 v11, 2, v11
	v_xor_b32_e32 v15, 1, v4
	v_cndmask_b32_e64 v12, v4, v12, s[0:1]
	v_cmp_lt_i32_e64 s[0:1], v13, v5
	v_lshlrev_b32_e32 v12, 2, v12
	s_mov_b32 s2, 0x3fb8aa3b
	v_cndmask_b32_e64 v13, v4, v13, s[0:1]
	s_waitcnt lgkmcnt(0)
	v_cmp_lt_f32_e64 s[0:1], v8, v6
	v_lshlrev_b32_e32 v13, 2, v13
	s_mov_b32 s3, 0xc2ce8ed0
	v_cndmask_b32_e64 v6, v8, v6, s[0:1]
	ds_bpermute_b32 v14, v11, v6
	v_cmp_lt_f32_e64 s[0:1], v9, v7
	s_mov_b32 s4, 0x42b17218
	s_nop 0
	v_cndmask_b32_e64 v7, v9, v7, s[0:1]
	s_waitcnt lgkmcnt(0)
	v_cmp_lt_f32_e64 s[0:1], v6, v14
	ds_bpermute_b32 v16, v11, v7
	s_nop 0
	v_cndmask_b32_e64 v6, v6, v14, s[0:1]
	ds_bpermute_b32 v14, v12, v6
	v_cmp_lt_i32_e64 s[0:1], v15, v5
	s_nop 1
	v_cndmask_b32_e64 v4, v4, v15, s[0:1]
	s_waitcnt lgkmcnt(1)
	v_cmp_lt_f32_e64 s[0:1], v7, v16
	v_lshlrev_b32_e32 v15, 2, v4
	s_nop 0
	v_cndmask_b32_e64 v5, v7, v16, s[0:1]
	s_waitcnt lgkmcnt(0)
	v_cmp_lt_f32_e64 s[0:1], v6, v14
	ds_bpermute_b32 v7, v12, v5
	s_nop 0
	v_cndmask_b32_e64 v6, v6, v14, s[0:1]
	ds_bpermute_b32 v14, v13, v6
	s_waitcnt lgkmcnt(1)
	v_cmp_lt_f32_e64 s[0:1], v5, v7
	s_nop 1
	v_cndmask_b32_e64 v4, v5, v7, s[0:1]
	s_waitcnt lgkmcnt(0)
	v_cmp_lt_f32_e64 s[0:1], v6, v14
	ds_bpermute_b32 v5, v13, v4
	s_nop 0
	v_cndmask_b32_e64 v6, v6, v14, s[0:1]
	ds_bpermute_b32 v7, v15, v6
	s_waitcnt lgkmcnt(1)
	v_cmp_lt_f32_e64 s[0:1], v4, v5
	s_nop 1
	v_cndmask_b32_e64 v4, v4, v5, s[0:1]
	s_waitcnt lgkmcnt(0)
	v_cmp_lt_f32_e64 s[0:1], v6, v7
	ds_bpermute_b32 v14, v15, v4
	s_nop 0
	v_cndmask_b32_e64 v5, v6, v7, s[0:1]
	v_sub_f32_e32 v6, v8, v5
	v_mul_f32_e32 v7, 0x3fb8aa3b, v6
	v_fma_f32 v8, v6, s2, -v7
	v_rndne_f32_e32 v16, v7
	v_fmac_f32_e32 v8, 0x32a5705f, v6
	v_sub_f32_e32 v7, v7, v16
	v_add_f32_e32 v7, v7, v8
	v_exp_f32_e32 v7, v7
	v_cvt_i32_f32_e32 v8, v16
	s_waitcnt lgkmcnt(0)
	v_cmp_lt_f32_e64 s[0:1], v4, v14
	v_ldexp_f32 v7, v7, v8
	s_nop 0
	v_cndmask_b32_e64 v4, v4, v14, s[0:1]
	v_sub_f32_e32 v8, v9, v4
	v_mul_f32_e32 v9, 0x3fb8aa3b, v8
	v_fma_f32 v14, v8, s2, -v9
	v_rndne_f32_e32 v16, v9
	v_fmac_f32_e32 v14, 0x32a5705f, v8
	v_sub_f32_e32 v9, v9, v16
	v_add_f32_e32 v9, v9, v14
	v_exp_f32_e32 v9, v9
	v_cvt_i32_f32_e32 v14, v16
	v_cmp_ngt_f32_e64 s[0:1], s3, v6
	v_mov_b32_e32 v16, 0x7f800000
	s_nop 0
	v_cndmask_b32_e64 v7, 0, v7, s[0:1]
	v_cmp_nlt_f32_e64 s[0:1], s4, v6
	v_ldexp_f32 v6, v9, v14
	s_nop 0
	v_cndmask_b32_e64 v7, v16, v7, s[0:1]
	v_cmp_ngt_f32_e64 s[0:1], s3, v8
	s_nop 1
	v_cndmask_b32_e64 v6, 0, v6, s[0:1]
	v_cmp_nlt_f32_e64 s[0:1], s4, v8
	ds_bpermute_b32 v8, v10, v7
	s_waitcnt lgkmcnt(0)
	v_add_f32_e32 v8, v7, v8
	v_cndmask_b32_e64 v6, v16, v6, s[0:1]
	ds_bpermute_b32 v9, v10, v6
	ds_bpermute_b32 v10, v11, v8
	s_waitcnt lgkmcnt(1)
	v_add_f32_e32 v9, v6, v9
	ds_bpermute_b32 v11, v11, v9
	s_waitcnt lgkmcnt(1)
	v_add_f32_e32 v8, v8, v10
	;; [unrolled: 3-line block ×6, first 2 shown]
	s_waitcnt lgkmcnt(0)
	v_add_f32_e32 v8, v9, v11
	ds_bpermute_b32 v11, v15, v10
	ds_bpermute_b32 v9, v15, v8
	s_and_saveexec_b64 s[0:1], vcc
	s_cbranch_execz .LBB16_17
; %bb.13:
	v_mov_b32_e32 v12, s12
	v_mov_b32_e32 v13, s13
	v_lshl_add_u64 v[2:3], v[2:3], 1, v[12:13]
	v_cmp_le_i32_e64 s[0:1], s10, v0
	v_cmp_gt_i32_e32 vcc, s10, v0
	s_and_saveexec_b64 s[2:3], vcc
	s_cbranch_execz .LBB16_15
; %bb.14:
	s_waitcnt lgkmcnt(1)
	v_add_f32_e32 v0, v10, v11
	v_div_scale_f32 v10, s[4:5], v0, v0, v7
	v_rcp_f32_e32 v11, v10
	s_mov_b32 s4, 0xc61c4000
	v_fma_f32 v12, -v10, v11, 1.0
	v_fmac_f32_e32 v11, v12, v11
	v_div_scale_f32 v12, vcc, v7, v0, v7
	v_mul_f32_e32 v13, v12, v11
	v_fma_f32 v14, -v10, v13, v12
	v_fmac_f32_e32 v13, v14, v11
	v_fma_f32 v10, -v10, v13, v12
	v_div_fmas_f32 v10, v10, v11, v13
	v_div_fixup_f32 v0, v10, v0, v7
	v_cvt_pk_bf16_f32 v0, v0, s0
	v_cmp_neq_f32_e32 vcc, s4, v5
	s_nop 1
	v_cndmask_b32_e32 v0, 0, v0, vcc
	global_store_short v[2:3], v0, off
.LBB16_15:
	s_or_b64 exec, exec, s[2:3]
	v_cmp_ne_u32_e32 vcc, 1, v1
	s_xor_b64 s[0:1], s[0:1], -1
	s_and_b64 s[0:1], vcc, s[0:1]
	s_and_saveexec_b64 s[2:3], s[0:1]
	s_xor_b64 s[2:3], exec, s[2:3]
	s_cbranch_execz .LBB16_17
; %bb.16:
	s_waitcnt lgkmcnt(0)
	v_add_f32_e32 v0, v8, v9
	v_div_scale_f32 v1, s[0:1], v0, v0, v6
	v_rcp_f32_e32 v5, v1
	s_mov_b32 s0, 0xc61c4000
	s_mov_b32 s11, 0
	v_fma_f32 v7, -v1, v5, 1.0
	v_fmac_f32_e32 v5, v7, v5
	v_div_scale_f32 v7, vcc, v6, v0, v6
	v_mul_f32_e32 v8, v7, v5
	v_fma_f32 v9, -v1, v8, v7
	v_fmac_f32_e32 v8, v9, v5
	v_fma_f32 v1, -v1, v8, v7
	v_div_fmas_f32 v1, v1, v5, v8
	v_div_fixup_f32 v0, v1, v0, v6
	v_cvt_pk_bf16_f32 v5, v0, s0
	v_cmp_neq_f32_e32 vcc, s0, v4
	v_lshl_add_u64 v[0:1], s[10:11], 1, v[2:3]
	s_nop 0
	v_cndmask_b32_e32 v2, 0, v5, vcc
	global_store_short v[0:1], v2, off
.LBB16_17:
	s_endpgm
	.section	.rodata,"a",@progbits
	.p2align	6, 0x0
	.amdhsa_kernel _Z34scaled_masked_softmax_warp_forwardI14__hip_bfloat16S0_fLi5EEvPT0_PKT_PKhT1_iii
		.amdhsa_group_segment_fixed_size 0
		.amdhsa_private_segment_fixed_size 0
		.amdhsa_kernarg_size 296
		.amdhsa_user_sgpr_count 2
		.amdhsa_user_sgpr_dispatch_ptr 0
		.amdhsa_user_sgpr_queue_ptr 0
		.amdhsa_user_sgpr_kernarg_segment_ptr 1
		.amdhsa_user_sgpr_dispatch_id 0
		.amdhsa_user_sgpr_kernarg_preload_length 0
		.amdhsa_user_sgpr_kernarg_preload_offset 0
		.amdhsa_user_sgpr_private_segment_size 0
		.amdhsa_uses_dynamic_stack 0
		.amdhsa_enable_private_segment 0
		.amdhsa_system_sgpr_workgroup_id_x 1
		.amdhsa_system_sgpr_workgroup_id_y 1
		.amdhsa_system_sgpr_workgroup_id_z 1
		.amdhsa_system_sgpr_workgroup_info 0
		.amdhsa_system_vgpr_workitem_id 1
		.amdhsa_next_free_vgpr 17
		.amdhsa_next_free_sgpr 18
		.amdhsa_accum_offset 20
		.amdhsa_reserve_vcc 1
		.amdhsa_float_round_mode_32 0
		.amdhsa_float_round_mode_16_64 0
		.amdhsa_float_denorm_mode_32 3
		.amdhsa_float_denorm_mode_16_64 3
		.amdhsa_dx10_clamp 1
		.amdhsa_ieee_mode 1
		.amdhsa_fp16_overflow 0
		.amdhsa_tg_split 0
		.amdhsa_exception_fp_ieee_invalid_op 0
		.amdhsa_exception_fp_denorm_src 0
		.amdhsa_exception_fp_ieee_div_zero 0
		.amdhsa_exception_fp_ieee_overflow 0
		.amdhsa_exception_fp_ieee_underflow 0
		.amdhsa_exception_fp_ieee_inexact 0
		.amdhsa_exception_int_div_zero 0
	.end_amdhsa_kernel
	.section	.text._Z34scaled_masked_softmax_warp_forwardI14__hip_bfloat16S0_fLi5EEvPT0_PKT_PKhT1_iii,"axG",@progbits,_Z34scaled_masked_softmax_warp_forwardI14__hip_bfloat16S0_fLi5EEvPT0_PKT_PKhT1_iii,comdat
.Lfunc_end16:
	.size	_Z34scaled_masked_softmax_warp_forwardI14__hip_bfloat16S0_fLi5EEvPT0_PKT_PKhT1_iii, .Lfunc_end16-_Z34scaled_masked_softmax_warp_forwardI14__hip_bfloat16S0_fLi5EEvPT0_PKT_PKhT1_iii
                                        ; -- End function
	.set _Z34scaled_masked_softmax_warp_forwardI14__hip_bfloat16S0_fLi5EEvPT0_PKT_PKhT1_iii.num_vgpr, 17
	.set _Z34scaled_masked_softmax_warp_forwardI14__hip_bfloat16S0_fLi5EEvPT0_PKT_PKhT1_iii.num_agpr, 0
	.set _Z34scaled_masked_softmax_warp_forwardI14__hip_bfloat16S0_fLi5EEvPT0_PKT_PKhT1_iii.numbered_sgpr, 18
	.set _Z34scaled_masked_softmax_warp_forwardI14__hip_bfloat16S0_fLi5EEvPT0_PKT_PKhT1_iii.num_named_barrier, 0
	.set _Z34scaled_masked_softmax_warp_forwardI14__hip_bfloat16S0_fLi5EEvPT0_PKT_PKhT1_iii.private_seg_size, 0
	.set _Z34scaled_masked_softmax_warp_forwardI14__hip_bfloat16S0_fLi5EEvPT0_PKT_PKhT1_iii.uses_vcc, 1
	.set _Z34scaled_masked_softmax_warp_forwardI14__hip_bfloat16S0_fLi5EEvPT0_PKT_PKhT1_iii.uses_flat_scratch, 0
	.set _Z34scaled_masked_softmax_warp_forwardI14__hip_bfloat16S0_fLi5EEvPT0_PKT_PKhT1_iii.has_dyn_sized_stack, 0
	.set _Z34scaled_masked_softmax_warp_forwardI14__hip_bfloat16S0_fLi5EEvPT0_PKT_PKhT1_iii.has_recursion, 0
	.set _Z34scaled_masked_softmax_warp_forwardI14__hip_bfloat16S0_fLi5EEvPT0_PKT_PKhT1_iii.has_indirect_call, 0
	.section	.AMDGPU.csdata,"",@progbits
; Kernel info:
; codeLenInByte = 1600
; TotalNumSgprs: 24
; NumVgprs: 17
; NumAgprs: 0
; TotalNumVgprs: 17
; ScratchSize: 0
; MemoryBound: 0
; FloatMode: 240
; IeeeMode: 1
; LDSByteSize: 0 bytes/workgroup (compile time only)
; SGPRBlocks: 2
; VGPRBlocks: 2
; NumSGPRsForWavesPerEU: 24
; NumVGPRsForWavesPerEU: 17
; AccumOffset: 20
; Occupancy: 8
; WaveLimiterHint : 0
; COMPUTE_PGM_RSRC2:SCRATCH_EN: 0
; COMPUTE_PGM_RSRC2:USER_SGPR: 2
; COMPUTE_PGM_RSRC2:TRAP_HANDLER: 0
; COMPUTE_PGM_RSRC2:TGID_X_EN: 1
; COMPUTE_PGM_RSRC2:TGID_Y_EN: 1
; COMPUTE_PGM_RSRC2:TGID_Z_EN: 1
; COMPUTE_PGM_RSRC2:TIDIG_COMP_CNT: 1
; COMPUTE_PGM_RSRC3_GFX90A:ACCUM_OFFSET: 4
; COMPUTE_PGM_RSRC3_GFX90A:TG_SPLIT: 0
	.section	.text._Z34scaled_masked_softmax_warp_forwardI14__hip_bfloat16S0_fLi6EEvPT0_PKT_PKhT1_iii,"axG",@progbits,_Z34scaled_masked_softmax_warp_forwardI14__hip_bfloat16S0_fLi6EEvPT0_PKT_PKhT1_iii,comdat
	.protected	_Z34scaled_masked_softmax_warp_forwardI14__hip_bfloat16S0_fLi6EEvPT0_PKT_PKhT1_iii ; -- Begin function _Z34scaled_masked_softmax_warp_forwardI14__hip_bfloat16S0_fLi6EEvPT0_PKT_PKhT1_iii
	.globl	_Z34scaled_masked_softmax_warp_forwardI14__hip_bfloat16S0_fLi6EEvPT0_PKT_PKhT1_iii
	.p2align	8
	.type	_Z34scaled_masked_softmax_warp_forwardI14__hip_bfloat16S0_fLi6EEvPT0_PKT_PKhT1_iii,@function
_Z34scaled_masked_softmax_warp_forwardI14__hip_bfloat16S0_fLi6EEvPT0_PKT_PKhT1_iii: ; @_Z34scaled_masked_softmax_warp_forwardI14__hip_bfloat16S0_fLi6EEvPT0_PKT_PKhT1_iii
; %bb.0:
	s_load_dword s5, s[0:1], 0x34
	s_load_dwordx4 s[8:11], s[0:1], 0x18
	s_load_dwordx2 s[6:7], s[0:1], 0x28
	s_waitcnt lgkmcnt(0)
	s_lshr_b32 s18, s5, 16
	s_cmp_eq_u32 s11, 1
	s_mov_b32 s5, s2
	s_cbranch_scc1 .LBB17_2
; %bb.1:
	s_mul_i32 s5, s6, s4
	s_add_i32 s5, s5, s2
.LBB17_2:
	s_load_dwordx4 s[12:15], s[0:1], 0x0
	s_load_dwordx2 s[16:17], s[0:1], 0x10
	s_mul_i32 s1, s7, s4
	s_add_i32 s1, s1, s3
	s_mul_i32 s1, s6, s1
	s_and_b32 s0, 0xffff, s18
	s_add_i32 s1, s1, s2
	s_mul_i32 s1, s1, s0
	v_bfe_u32 v4, v0, 10, 10
	v_add_lshl_u32 v2, s1, v4, 1
	v_sub_u32_e32 v1, s9, v2
	v_and_b32_e32 v0, 0x3ff, v0
	v_mad_u64_u32 v[2:3], s[2:3], v2, s10, v[0:1]
	v_ashrrev_i32_e32 v3, 31, v2
	v_cmp_lt_i32_e32 vcc, 0, v1
                                        ; implicit-def: $vgpr8
                                        ; implicit-def: $vgpr10
                                        ; implicit-def: $vgpr9
                                        ; implicit-def: $vgpr11
	s_and_saveexec_b64 s[6:7], vcc
	s_cbranch_execz .LBB17_22
; %bb.3:
	s_mul_i32 s0, s5, s0
	s_waitcnt lgkmcnt(0)
	v_mov_b32_e32 v6, s14
	v_mov_b32_e32 v7, s15
	v_add_u32_e32 v8, s0, v4
	v_lshl_add_u64 v[4:5], v[2:3], 1, v[6:7]
	v_mul_lo_u32 v6, s10, v8
	v_lshl_add_u32 v6, v6, 1, v0
	v_ashrrev_i32_e32 v7, 31, v6
	v_lshl_add_u64 v[6:7], s[16:17], 0, v[6:7]
	v_cmp_gt_i32_e64 s[2:3], s10, v0
	v_mov_b32_e32 v8, 0xff800000
	v_mov_b32_e32 v9, 0xff800000
	s_and_saveexec_b64 s[4:5], s[2:3]
	s_cbranch_execz .LBB17_7
; %bb.4:
	global_load_ubyte v9, v[6:7], off
	s_waitcnt vmcnt(0)
	v_cmp_ne_u16_e64 s[0:1], 1, v9
	v_mov_b32_e32 v9, 0xc61c4000
	s_and_saveexec_b64 s[14:15], s[0:1]
	s_cbranch_execz .LBB17_6
; %bb.5:
	global_load_ushort v9, v[4:5], off
	s_waitcnt vmcnt(0)
	v_lshlrev_b32_e32 v9, 16, v9
	v_mul_f32_e32 v9, s8, v9
.LBB17_6:
	s_or_b64 exec, exec, s[14:15]
.LBB17_7:
	s_or_b64 exec, exec, s[4:5]
	v_add_u32_e32 v10, 32, v0
	v_cmp_gt_i32_e64 s[0:1], s10, v10
	s_and_saveexec_b64 s[14:15], s[0:1]
	s_cbranch_execz .LBB17_11
; %bb.8:
	global_load_ubyte v8, v[6:7], off offset:32
	s_waitcnt vmcnt(0)
	v_cmp_ne_u16_e64 s[4:5], 1, v8
	v_mov_b32_e32 v8, 0xc61c4000
	s_and_saveexec_b64 s[16:17], s[4:5]
	s_cbranch_execz .LBB17_10
; %bb.9:
	global_load_ushort v8, v[4:5], off offset:64
	s_waitcnt vmcnt(0)
	v_lshlrev_b32_e32 v8, 16, v8
	v_mul_f32_e32 v8, s8, v8
.LBB17_10:
	s_or_b64 exec, exec, s[16:17]
.LBB17_11:
	s_or_b64 exec, exec, s[14:15]
	v_cmp_ne_u32_e64 s[4:5], 1, v1
                                        ; implicit-def: $vgpr10
                                        ; implicit-def: $vgpr11
	s_and_saveexec_b64 s[14:15], s[4:5]
	s_cbranch_execz .LBB17_21
; %bb.12:
	v_mov_b32_e32 v10, 0xff800000
	v_mov_b32_e32 v11, 0xff800000
	s_and_saveexec_b64 s[4:5], s[2:3]
	s_cbranch_execz .LBB17_16
; %bb.13:
	s_mov_b32 s11, 0
	v_lshl_add_u64 v[12:13], v[6:7], 0, s[10:11]
	global_load_ubyte v11, v[12:13], off
	s_waitcnt vmcnt(0)
	v_cmp_ne_u16_e64 s[2:3], 1, v11
	v_mov_b32_e32 v11, 0xc61c4000
	s_and_saveexec_b64 s[16:17], s[2:3]
	s_cbranch_execz .LBB17_15
; %bb.14:
	v_lshl_add_u64 v[12:13], s[10:11], 1, v[4:5]
	global_load_ushort v11, v[12:13], off
	s_waitcnt vmcnt(0)
	v_lshlrev_b32_e32 v11, 16, v11
	v_mul_f32_e32 v11, s8, v11
.LBB17_15:
	s_or_b64 exec, exec, s[16:17]
.LBB17_16:
	s_or_b64 exec, exec, s[4:5]
	s_and_saveexec_b64 s[2:3], s[0:1]
	s_xor_b64 s[2:3], exec, s[2:3]
	s_cbranch_execz .LBB17_20
; %bb.17:
	s_mov_b32 s11, 0
	v_lshl_add_u64 v[6:7], v[6:7], 0, s[10:11]
	global_load_ubyte v6, v[6:7], off offset:32
	v_mov_b32_e32 v10, 0xc61c4000
	s_waitcnt vmcnt(0)
	v_cmp_ne_u16_e64 s[0:1], 1, v6
	s_and_saveexec_b64 s[4:5], s[0:1]
	s_xor_b64 s[0:1], exec, s[4:5]
	s_cbranch_execz .LBB17_19
; %bb.18:
	v_lshl_add_u64 v[4:5], s[10:11], 1, v[4:5]
	global_load_ushort v4, v[4:5], off offset:64
	s_waitcnt vmcnt(0)
	v_lshlrev_b32_e32 v4, 16, v4
	v_mul_f32_e32 v10, s8, v4
.LBB17_19:
	s_or_b64 exec, exec, s[0:1]
.LBB17_20:
	s_or_b64 exec, exec, s[2:3]
.LBB17_21:
	s_or_b64 exec, exec, s[14:15]
.LBB17_22:
	s_or_b64 exec, exec, s[6:7]
	v_mbcnt_lo_u32_b32 v4, -1, 0
	v_mbcnt_hi_u32_b32 v4, -1, v4
	v_and_b32_e32 v5, 0x60, v4
	v_add_u32_e32 v5, 32, v5
	v_xor_b32_e32 v6, 16, v4
	v_cmp_lt_i32_e64 s[0:1], v6, v5
	v_xor_b32_e32 v18, 1, v4
	s_mov_b32 s2, 0x3fb8aa3b
	v_cndmask_b32_e64 v6, v4, v6, s[0:1]
	v_lshlrev_b32_e32 v14, 2, v6
	v_xor_b32_e32 v6, 8, v4
	v_cmp_lt_i32_e64 s[0:1], v6, v5
	s_mov_b32 s3, 0xc2ce8ed0
	s_mov_b32 s4, 0x42b17218
	v_cndmask_b32_e64 v6, v4, v6, s[0:1]
	v_lshlrev_b32_e32 v15, 2, v6
	v_xor_b32_e32 v6, 4, v4
	v_cmp_lt_i32_e64 s[0:1], v6, v5
	v_mov_b32_e32 v19, 0x7f800000
	s_nop 0
	v_cndmask_b32_e64 v6, v4, v6, s[0:1]
	v_lshlrev_b32_e32 v16, 2, v6
	v_xor_b32_e32 v6, 2, v4
	v_cmp_lt_i32_e64 s[0:1], v6, v5
	s_nop 1
	v_cndmask_b32_e64 v6, v4, v6, s[0:1]
	v_cmp_gt_f32_e64 s[0:1], v9, v8
	v_lshlrev_b32_e32 v17, 2, v6
	s_nop 0
	v_cndmask_b32_e64 v7, v8, v9, s[0:1]
	ds_bpermute_b32 v12, v14, v7
	v_cmp_gt_f32_e64 s[0:1], v11, v10
	s_nop 1
	v_cndmask_b32_e64 v6, v10, v11, s[0:1]
	s_waitcnt lgkmcnt(0)
	v_cmp_lt_f32_e64 s[0:1], v7, v12
	ds_bpermute_b32 v13, v14, v6
	s_nop 0
	v_cndmask_b32_e64 v7, v7, v12, s[0:1]
	ds_bpermute_b32 v12, v15, v7
	s_waitcnt lgkmcnt(1)
	v_cmp_lt_f32_e64 s[0:1], v6, v13
	s_nop 1
	v_cndmask_b32_e64 v6, v6, v13, s[0:1]
	s_waitcnt lgkmcnt(0)
	v_cmp_lt_f32_e64 s[0:1], v7, v12
	ds_bpermute_b32 v13, v15, v6
	s_nop 0
	v_cndmask_b32_e64 v7, v7, v12, s[0:1]
	ds_bpermute_b32 v12, v16, v7
	v_cmp_lt_i32_e64 s[0:1], v18, v5
	s_nop 1
	v_cndmask_b32_e64 v4, v4, v18, s[0:1]
	s_waitcnt lgkmcnt(1)
	v_cmp_lt_f32_e64 s[0:1], v6, v13
	v_lshlrev_b32_e32 v18, 2, v4
	s_nop 0
	v_cndmask_b32_e64 v5, v6, v13, s[0:1]
	s_waitcnt lgkmcnt(0)
	v_cmp_lt_f32_e64 s[0:1], v7, v12
	ds_bpermute_b32 v6, v16, v5
	s_nop 0
	v_cndmask_b32_e64 v7, v7, v12, s[0:1]
	ds_bpermute_b32 v12, v17, v7
	s_waitcnt lgkmcnt(1)
	v_cmp_lt_f32_e64 s[0:1], v5, v6
	s_nop 1
	v_cndmask_b32_e64 v4, v5, v6, s[0:1]
	s_waitcnt lgkmcnt(0)
	v_cmp_lt_f32_e64 s[0:1], v7, v12
	ds_bpermute_b32 v5, v17, v4
	s_nop 0
	v_cndmask_b32_e64 v6, v7, v12, s[0:1]
	ds_bpermute_b32 v7, v18, v6
	s_waitcnt lgkmcnt(1)
	v_cmp_lt_f32_e64 s[0:1], v4, v5
	s_nop 1
	v_cndmask_b32_e64 v4, v4, v5, s[0:1]
	s_waitcnt lgkmcnt(0)
	v_cmp_lt_f32_e64 s[0:1], v6, v7
	ds_bpermute_b32 v5, v18, v4
	s_nop 0
	v_cndmask_b32_e64 v12, v6, v7, s[0:1]
	v_sub_f32_e32 v6, v9, v12
	v_mul_f32_e32 v7, 0x3fb8aa3b, v6
	v_fma_f32 v9, v6, s2, -v7
	v_rndne_f32_e32 v13, v7
	v_fmac_f32_e32 v9, 0x32a5705f, v6
	v_sub_f32_e32 v7, v7, v13
	v_add_f32_e32 v7, v7, v9
	v_exp_f32_e32 v7, v7
	v_cvt_i32_f32_e32 v9, v13
	s_waitcnt lgkmcnt(0)
	v_cmp_lt_f32_e64 s[0:1], v4, v5
	s_nop 1
	v_cndmask_b32_e64 v5, v4, v5, s[0:1]
	v_ldexp_f32 v4, v7, v9
	v_sub_f32_e32 v7, v8, v12
	v_mul_f32_e32 v8, 0x3fb8aa3b, v7
	v_fma_f32 v9, v7, s2, -v8
	v_rndne_f32_e32 v13, v8
	v_fmac_f32_e32 v9, 0x32a5705f, v7
	v_sub_f32_e32 v8, v8, v13
	v_add_f32_e32 v8, v8, v9
	v_exp_f32_e32 v8, v8
	v_cvt_i32_f32_e32 v9, v13
	v_cmp_ngt_f32_e64 s[0:1], s3, v6
	s_nop 1
	v_cndmask_b32_e64 v4, 0, v4, s[0:1]
	v_cmp_nlt_f32_e64 s[0:1], s4, v6
	v_sub_f32_e32 v6, v11, v5
	s_nop 0
	v_cndmask_b32_e64 v13, v19, v4, s[0:1]
	v_ldexp_f32 v4, v8, v9
	v_mul_f32_e32 v8, 0x3fb8aa3b, v6
	v_fma_f32 v9, v6, s2, -v8
	v_rndne_f32_e32 v11, v8
	v_fmac_f32_e32 v9, 0x32a5705f, v6
	v_sub_f32_e32 v8, v8, v11
	v_add_f32_e32 v8, v8, v9
	v_exp_f32_e32 v8, v8
	v_cvt_i32_f32_e32 v9, v11
	v_cmp_ngt_f32_e64 s[0:1], s3, v7
	s_nop 1
	v_cndmask_b32_e64 v4, 0, v4, s[0:1]
	v_cmp_nlt_f32_e64 s[0:1], s4, v7
	s_nop 1
	v_cndmask_b32_e64 v7, v19, v4, s[0:1]
	v_ldexp_f32 v4, v8, v9
	v_sub_f32_e32 v8, v10, v5
	v_mul_f32_e32 v9, 0x3fb8aa3b, v8
	v_fma_f32 v10, v8, s2, -v9
	v_rndne_f32_e32 v20, v9
	v_fmac_f32_e32 v10, 0x32a5705f, v8
	v_sub_f32_e32 v9, v9, v20
	v_add_f32_e32 v9, v9, v10
	v_exp_f32_e32 v9, v9
	v_cvt_i32_f32_e32 v10, v20
	v_cmp_ngt_f32_e64 s[0:1], s3, v6
	v_add_f32_e32 v11, v13, v7
	s_nop 0
	v_cndmask_b32_e64 v4, 0, v4, s[0:1]
	v_cmp_nlt_f32_e64 s[0:1], s4, v6
	s_nop 1
	v_cndmask_b32_e64 v6, v19, v4, s[0:1]
	v_ldexp_f32 v4, v9, v10
	v_cmp_ngt_f32_e64 s[0:1], s3, v8
	ds_bpermute_b32 v9, v14, v11
	s_waitcnt lgkmcnt(0)
	v_add_f32_e32 v9, v11, v9
	v_cndmask_b32_e64 v4, 0, v4, s[0:1]
	v_cmp_nlt_f32_e64 s[0:1], s4, v8
	s_nop 1
	v_cndmask_b32_e64 v4, v19, v4, s[0:1]
	v_add_f32_e32 v8, v6, v4
	ds_bpermute_b32 v10, v14, v8
	s_waitcnt lgkmcnt(0)
	v_add_f32_e32 v8, v8, v10
	ds_bpermute_b32 v10, v15, v9
	ds_bpermute_b32 v11, v15, v8
	s_waitcnt lgkmcnt(1)
	v_add_f32_e32 v9, v9, v10
	s_waitcnt lgkmcnt(0)
	v_add_f32_e32 v8, v8, v11
	ds_bpermute_b32 v10, v16, v9
	ds_bpermute_b32 v11, v16, v8
	s_waitcnt lgkmcnt(1)
	v_add_f32_e32 v9, v9, v10
	;; [unrolled: 6-line block ×3, first 2 shown]
	s_waitcnt lgkmcnt(0)
	v_add_f32_e32 v8, v8, v11
	ds_bpermute_b32 v11, v18, v10
	ds_bpermute_b32 v9, v18, v8
	s_and_saveexec_b64 s[0:1], vcc
	s_cbranch_execz .LBB17_38
; %bb.23:
	v_mov_b32_e32 v14, s12
	v_mov_b32_e32 v15, s13
	v_lshl_add_u64 v[2:3], v[2:3], 1, v[14:15]
	v_cmp_gt_i32_e64 s[0:1], s10, v0
	s_and_saveexec_b64 s[4:5], s[0:1]
	s_cbranch_execz .LBB17_30
; %bb.24:
	s_mov_b32 s2, 0xc61c4000
	v_cmp_neq_f32_e64 s[2:3], s2, v12
	s_waitcnt lgkmcnt(1)
	v_add_f32_e32 v10, v10, v11
	v_mov_b32_e32 v11, 0
	s_and_saveexec_b64 s[6:7], s[2:3]
	s_cbranch_execz .LBB17_26
; %bb.25:
	v_div_scale_f32 v11, s[8:9], v10, v10, v13
	v_rcp_f32_e32 v12, v11
	v_div_scale_f32 v14, vcc, v13, v10, v13
	v_fma_f32 v15, -v11, v12, 1.0
	v_fmac_f32_e32 v12, v15, v12
	v_mul_f32_e32 v15, v14, v12
	v_fma_f32 v16, -v11, v15, v14
	v_fmac_f32_e32 v15, v16, v12
	v_fma_f32 v11, -v11, v15, v14
	v_div_fmas_f32 v11, v11, v12, v15
	v_div_fixup_f32 v11, v11, v10, v13
	v_cvt_pk_bf16_f32 v11, v11, s0
.LBB17_26:
	s_or_b64 exec, exec, s[6:7]
	global_store_short v[2:3], v11, off
	v_add_u32_e32 v11, 32, v0
	v_cmp_gt_u32_e32 vcc, s10, v11
	s_and_b64 exec, exec, vcc
	s_cbranch_execz .LBB17_30
; %bb.27:
	v_mov_b32_e32 v11, 0
	s_and_saveexec_b64 s[6:7], s[2:3]
	s_cbranch_execz .LBB17_29
; %bb.28:
	v_div_scale_f32 v11, s[2:3], v10, v10, v7
	v_rcp_f32_e32 v12, v11
	v_div_scale_f32 v13, vcc, v7, v10, v7
	v_fma_f32 v14, -v11, v12, 1.0
	v_fmac_f32_e32 v12, v14, v12
	v_mul_f32_e32 v14, v13, v12
	v_fma_f32 v15, -v11, v14, v13
	v_fmac_f32_e32 v14, v15, v12
	v_fma_f32 v11, -v11, v14, v13
	v_div_fmas_f32 v11, v11, v12, v14
	v_div_fixup_f32 v7, v11, v10, v7
	v_cvt_pk_bf16_f32 v11, v7, s0
.LBB17_29:
	s_or_b64 exec, exec, s[6:7]
	global_store_short v[2:3], v11, off offset:64
.LBB17_30:
	s_or_b64 exec, exec, s[4:5]
	v_cmp_ne_u32_e32 vcc, 1, v1
	s_and_saveexec_b64 s[2:3], vcc
	s_xor_b64 s[2:3], exec, s[2:3]
	s_cbranch_execz .LBB17_38
; %bb.31:
	s_and_b64 exec, exec, s[0:1]
	s_cbranch_execz .LBB17_38
; %bb.32:
	s_mov_b32 s0, 0xc61c4000
	v_cmp_neq_f32_e64 s[0:1], s0, v5
	s_waitcnt lgkmcnt(0)
	v_add_f32_e32 v1, v8, v9
	v_mov_b32_e32 v5, 0
	s_and_saveexec_b64 s[2:3], s[0:1]
	s_cbranch_execz .LBB17_34
; %bb.33:
	v_div_scale_f32 v5, s[4:5], v1, v1, v6
	v_rcp_f32_e32 v7, v5
	v_div_scale_f32 v8, vcc, v6, v1, v6
	v_fma_f32 v9, -v5, v7, 1.0
	v_fmac_f32_e32 v7, v9, v7
	v_mul_f32_e32 v9, v8, v7
	v_fma_f32 v10, -v5, v9, v8
	v_fmac_f32_e32 v9, v10, v7
	v_fma_f32 v5, -v5, v9, v8
	v_div_fmas_f32 v5, v5, v7, v9
	v_div_fixup_f32 v5, v5, v1, v6
	v_cvt_pk_bf16_f32 v5, v5, s0
.LBB17_34:
	s_or_b64 exec, exec, s[2:3]
	s_ashr_i32 s11, s10, 31
	v_add_u32_e32 v0, 32, v0
	v_lshl_add_u64 v[2:3], s[10:11], 1, v[2:3]
	v_cmp_gt_u32_e32 vcc, s10, v0
	global_store_short v[2:3], v5, off
	s_and_b64 exec, exec, vcc
	s_cbranch_execz .LBB17_38
; %bb.35:
	v_mov_b32_e32 v0, 0
	s_and_saveexec_b64 s[2:3], s[0:1]
	s_cbranch_execz .LBB17_37
; %bb.36:
	v_div_scale_f32 v0, s[0:1], v1, v1, v4
	v_rcp_f32_e32 v5, v0
	v_div_scale_f32 v6, vcc, v4, v1, v4
	v_fma_f32 v7, -v0, v5, 1.0
	v_fmac_f32_e32 v5, v7, v5
	v_mul_f32_e32 v7, v6, v5
	v_fma_f32 v8, -v0, v7, v6
	v_fmac_f32_e32 v7, v8, v5
	v_fma_f32 v0, -v0, v7, v6
	v_div_fmas_f32 v0, v0, v5, v7
	v_div_fixup_f32 v0, v0, v1, v4
	v_cvt_pk_bf16_f32 v0, v0, s0
.LBB17_37:
	s_or_b64 exec, exec, s[2:3]
	global_store_short v[2:3], v0, off offset:64
.LBB17_38:
	s_endpgm
	.section	.rodata,"a",@progbits
	.p2align	6, 0x0
	.amdhsa_kernel _Z34scaled_masked_softmax_warp_forwardI14__hip_bfloat16S0_fLi6EEvPT0_PKT_PKhT1_iii
		.amdhsa_group_segment_fixed_size 0
		.amdhsa_private_segment_fixed_size 0
		.amdhsa_kernarg_size 296
		.amdhsa_user_sgpr_count 2
		.amdhsa_user_sgpr_dispatch_ptr 0
		.amdhsa_user_sgpr_queue_ptr 0
		.amdhsa_user_sgpr_kernarg_segment_ptr 1
		.amdhsa_user_sgpr_dispatch_id 0
		.amdhsa_user_sgpr_kernarg_preload_length 0
		.amdhsa_user_sgpr_kernarg_preload_offset 0
		.amdhsa_user_sgpr_private_segment_size 0
		.amdhsa_uses_dynamic_stack 0
		.amdhsa_enable_private_segment 0
		.amdhsa_system_sgpr_workgroup_id_x 1
		.amdhsa_system_sgpr_workgroup_id_y 1
		.amdhsa_system_sgpr_workgroup_id_z 1
		.amdhsa_system_sgpr_workgroup_info 0
		.amdhsa_system_vgpr_workitem_id 1
		.amdhsa_next_free_vgpr 21
		.amdhsa_next_free_sgpr 19
		.amdhsa_accum_offset 24
		.amdhsa_reserve_vcc 1
		.amdhsa_float_round_mode_32 0
		.amdhsa_float_round_mode_16_64 0
		.amdhsa_float_denorm_mode_32 3
		.amdhsa_float_denorm_mode_16_64 3
		.amdhsa_dx10_clamp 1
		.amdhsa_ieee_mode 1
		.amdhsa_fp16_overflow 0
		.amdhsa_tg_split 0
		.amdhsa_exception_fp_ieee_invalid_op 0
		.amdhsa_exception_fp_denorm_src 0
		.amdhsa_exception_fp_ieee_div_zero 0
		.amdhsa_exception_fp_ieee_overflow 0
		.amdhsa_exception_fp_ieee_underflow 0
		.amdhsa_exception_fp_ieee_inexact 0
		.amdhsa_exception_int_div_zero 0
	.end_amdhsa_kernel
	.section	.text._Z34scaled_masked_softmax_warp_forwardI14__hip_bfloat16S0_fLi6EEvPT0_PKT_PKhT1_iii,"axG",@progbits,_Z34scaled_masked_softmax_warp_forwardI14__hip_bfloat16S0_fLi6EEvPT0_PKT_PKhT1_iii,comdat
.Lfunc_end17:
	.size	_Z34scaled_masked_softmax_warp_forwardI14__hip_bfloat16S0_fLi6EEvPT0_PKT_PKhT1_iii, .Lfunc_end17-_Z34scaled_masked_softmax_warp_forwardI14__hip_bfloat16S0_fLi6EEvPT0_PKT_PKhT1_iii
                                        ; -- End function
	.set _Z34scaled_masked_softmax_warp_forwardI14__hip_bfloat16S0_fLi6EEvPT0_PKT_PKhT1_iii.num_vgpr, 21
	.set _Z34scaled_masked_softmax_warp_forwardI14__hip_bfloat16S0_fLi6EEvPT0_PKT_PKhT1_iii.num_agpr, 0
	.set _Z34scaled_masked_softmax_warp_forwardI14__hip_bfloat16S0_fLi6EEvPT0_PKT_PKhT1_iii.numbered_sgpr, 19
	.set _Z34scaled_masked_softmax_warp_forwardI14__hip_bfloat16S0_fLi6EEvPT0_PKT_PKhT1_iii.num_named_barrier, 0
	.set _Z34scaled_masked_softmax_warp_forwardI14__hip_bfloat16S0_fLi6EEvPT0_PKT_PKhT1_iii.private_seg_size, 0
	.set _Z34scaled_masked_softmax_warp_forwardI14__hip_bfloat16S0_fLi6EEvPT0_PKT_PKhT1_iii.uses_vcc, 1
	.set _Z34scaled_masked_softmax_warp_forwardI14__hip_bfloat16S0_fLi6EEvPT0_PKT_PKhT1_iii.uses_flat_scratch, 0
	.set _Z34scaled_masked_softmax_warp_forwardI14__hip_bfloat16S0_fLi6EEvPT0_PKT_PKhT1_iii.has_dyn_sized_stack, 0
	.set _Z34scaled_masked_softmax_warp_forwardI14__hip_bfloat16S0_fLi6EEvPT0_PKT_PKhT1_iii.has_recursion, 0
	.set _Z34scaled_masked_softmax_warp_forwardI14__hip_bfloat16S0_fLi6EEvPT0_PKT_PKhT1_iii.has_indirect_call, 0
	.section	.AMDGPU.csdata,"",@progbits
; Kernel info:
; codeLenInByte = 2280
; TotalNumSgprs: 25
; NumVgprs: 21
; NumAgprs: 0
; TotalNumVgprs: 21
; ScratchSize: 0
; MemoryBound: 0
; FloatMode: 240
; IeeeMode: 1
; LDSByteSize: 0 bytes/workgroup (compile time only)
; SGPRBlocks: 3
; VGPRBlocks: 2
; NumSGPRsForWavesPerEU: 25
; NumVGPRsForWavesPerEU: 21
; AccumOffset: 24
; Occupancy: 8
; WaveLimiterHint : 0
; COMPUTE_PGM_RSRC2:SCRATCH_EN: 0
; COMPUTE_PGM_RSRC2:USER_SGPR: 2
; COMPUTE_PGM_RSRC2:TRAP_HANDLER: 0
; COMPUTE_PGM_RSRC2:TGID_X_EN: 1
; COMPUTE_PGM_RSRC2:TGID_Y_EN: 1
; COMPUTE_PGM_RSRC2:TGID_Z_EN: 1
; COMPUTE_PGM_RSRC2:TIDIG_COMP_CNT: 1
; COMPUTE_PGM_RSRC3_GFX90A:ACCUM_OFFSET: 5
; COMPUTE_PGM_RSRC3_GFX90A:TG_SPLIT: 0
	.section	.text._Z34scaled_masked_softmax_warp_forwardI14__hip_bfloat16S0_fLi7EEvPT0_PKT_PKhT1_iii,"axG",@progbits,_Z34scaled_masked_softmax_warp_forwardI14__hip_bfloat16S0_fLi7EEvPT0_PKT_PKhT1_iii,comdat
	.protected	_Z34scaled_masked_softmax_warp_forwardI14__hip_bfloat16S0_fLi7EEvPT0_PKT_PKhT1_iii ; -- Begin function _Z34scaled_masked_softmax_warp_forwardI14__hip_bfloat16S0_fLi7EEvPT0_PKT_PKhT1_iii
	.globl	_Z34scaled_masked_softmax_warp_forwardI14__hip_bfloat16S0_fLi7EEvPT0_PKT_PKhT1_iii
	.p2align	8
	.type	_Z34scaled_masked_softmax_warp_forwardI14__hip_bfloat16S0_fLi7EEvPT0_PKT_PKhT1_iii,@function
_Z34scaled_masked_softmax_warp_forwardI14__hip_bfloat16S0_fLi7EEvPT0_PKT_PKhT1_iii: ; @_Z34scaled_masked_softmax_warp_forwardI14__hip_bfloat16S0_fLi7EEvPT0_PKT_PKhT1_iii
; %bb.0:
	s_load_dword s5, s[0:1], 0x34
	s_load_dwordx4 s[8:11], s[0:1], 0x18
	s_load_dwordx2 s[16:17], s[0:1], 0x28
	s_waitcnt lgkmcnt(0)
	s_lshr_b32 s5, s5, 16
	s_cmp_eq_u32 s11, 1
	s_mov_b32 s11, s2
	s_cbranch_scc1 .LBB18_2
; %bb.1:
	s_mul_i32 s6, s16, s4
	s_add_i32 s11, s6, s2
.LBB18_2:
	s_load_dwordx4 s[12:15], s[0:1], 0x0
	s_load_dwordx2 s[6:7], s[0:1], 0x10
	s_mul_i32 s1, s17, s4
	s_add_i32 s1, s1, s3
	s_mul_i32 s1, s16, s1
	s_and_b32 s0, 0xffff, s5
	s_add_i32 s1, s1, s2
	s_mul_i32 s1, s1, s0
	v_bfe_u32 v4, v0, 10, 10
	v_add_lshl_u32 v2, s1, v4, 1
	v_lshlrev_b32_e32 v0, 2, v0
	v_sub_u32_e32 v1, s9, v2
	v_and_b32_e32 v0, 0xffc, v0
	v_mad_u64_u32 v[2:3], s[2:3], v2, s10, v[0:1]
	v_ashrrev_i32_e32 v3, 31, v2
	v_cmp_lt_i32_e32 vcc, 0, v1
                                        ; implicit-def: $vgpr11
                                        ; implicit-def: $vgpr10
                                        ; implicit-def: $vgpr13
                                        ; implicit-def: $vgpr12
                                        ; implicit-def: $vgpr14
                                        ; implicit-def: $vgpr15
                                        ; implicit-def: $vgpr8
                                        ; implicit-def: $vgpr9
	s_and_saveexec_b64 s[4:5], vcc
	s_cbranch_execz .LBB18_14
; %bb.3:
	s_mul_i32 s0, s11, s0
	s_waitcnt lgkmcnt(0)
	v_mov_b32_e32 v6, s14
	v_mov_b32_e32 v7, s15
	v_add_u32_e32 v8, s0, v4
	v_lshl_add_u64 v[4:5], v[2:3], 1, v[6:7]
	v_mul_lo_u32 v6, s10, v8
	v_lshl_add_u32 v6, v6, 1, v0
	v_ashrrev_i32_e32 v7, 31, v6
	v_lshl_add_u64 v[6:7], s[6:7], 0, v[6:7]
	v_cmp_gt_i32_e64 s[0:1], s10, v0
	v_mov_b32_e32 v14, 0xff800000
	v_mov_b32_e32 v13, 0xff800000
	;; [unrolled: 1-line block ×4, first 2 shown]
	s_and_saveexec_b64 s[6:7], s[0:1]
	s_cbranch_execz .LBB18_7
; %bb.4:
	global_load_dword v8, v[6:7], off
	global_load_dword v11, v[4:5], off offset:2
	global_load_ushort v9, v[4:5], off offset:6
	v_mov_b32_e32 v10, 1
	s_movk_i32 s9, 0xff
	v_mov_b32_e32 v12, 0xc61c4000
	v_mov_b32_e32 v14, 0xc61c4000
	s_waitcnt vmcnt(2)
	v_lshrrev_b32_e32 v13, 8, v8
	v_cmp_ne_u16_sdwa s[14:15], v8, v10 src0_sel:BYTE_0 src1_sel:DWORD
	s_and_saveexec_b64 s[2:3], s[14:15]
	s_cbranch_execz .LBB18_6
; %bb.5:
	global_load_ushort v14, v[4:5], off
	s_waitcnt vmcnt(0)
	v_lshlrev_b32_e32 v14, 16, v14
	v_mul_f32_e32 v14, s8, v14
.LBB18_6:
	s_or_b64 exec, exec, s[2:3]
	s_waitcnt vmcnt(1)
	v_lshlrev_b32_e32 v16, 16, v11
	v_and_b32_sdwa v15, v8, s9 dst_sel:DWORD dst_unused:UNUSED_PAD src0_sel:WORD_1 src1_sel:DWORD
	v_mul_f32_e32 v16, s8, v16
	v_cmp_ne_u16_sdwa s[2:3], v13, v10 src0_sel:BYTE_0 src1_sel:DWORD
	v_and_b32_e32 v11, 0xffff0000, v11
	v_mul_f32_e32 v11, s8, v11
	v_cndmask_b32_e64 v13, v12, v16, s[2:3]
	v_cmp_ne_u16_e64 s[2:3], 1, v15
	s_waitcnt vmcnt(0)
	v_lshlrev_b32_e32 v9, 16, v9
	v_mul_f32_e32 v9, s8, v9
	v_cndmask_b32_e64 v11, v12, v11, s[2:3]
	v_cmp_ne_u16_sdwa s[2:3], v8, v10 src0_sel:BYTE_3 src1_sel:DWORD
	s_nop 1
	v_cndmask_b32_e64 v8, v12, v9, s[2:3]
.LBB18_7:
	s_or_b64 exec, exec, s[6:7]
	v_cmp_ne_u32_e64 s[2:3], 1, v1
                                        ; implicit-def: $vgpr10
                                        ; implicit-def: $vgpr12
                                        ; implicit-def: $vgpr15
                                        ; implicit-def: $vgpr9
	s_and_saveexec_b64 s[6:7], s[2:3]
	s_xor_b64 s[2:3], exec, s[6:7]
	s_cbranch_execz .LBB18_13
; %bb.8:
	v_mov_b32_e32 v10, 0xff800000
	v_mov_b32_e32 v12, 0xff800000
	v_mov_b32_e32 v15, 0xff800000
	v_mov_b32_e32 v9, 0xff800000
	s_and_saveexec_b64 s[6:7], s[0:1]
	s_cbranch_execz .LBB18_12
; %bb.9:
	s_mov_b32 s11, 0
	v_lshl_add_u64 v[6:7], v[6:7], 0, s[10:11]
	global_load_dword v6, v[6:7], off
	v_lshl_add_u64 v[4:5], s[10:11], 1, v[4:5]
	global_load_dword v10, v[4:5], off offset:2
	global_load_ushort v7, v[4:5], off offset:6
	v_mov_b32_e32 v9, 1
	s_movk_i32 s9, 0xff
	v_mov_b32_e32 v16, 0xc61c4000
	v_mov_b32_e32 v15, 0xc61c4000
	s_waitcnt vmcnt(2)
	v_lshrrev_b32_e32 v12, 8, v6
	v_cmp_ne_u16_sdwa s[14:15], v6, v9 src0_sel:BYTE_0 src1_sel:DWORD
	s_and_saveexec_b64 s[0:1], s[14:15]
	s_cbranch_execz .LBB18_11
; %bb.10:
	global_load_ushort v4, v[4:5], off
	s_waitcnt vmcnt(0)
	v_lshlrev_b32_e32 v4, 16, v4
	v_mul_f32_e32 v15, s8, v4
.LBB18_11:
	s_or_b64 exec, exec, s[0:1]
	s_waitcnt vmcnt(1)
	v_lshlrev_b32_e32 v5, 16, v10
	v_mul_f32_e32 v5, s8, v5
	v_cmp_ne_u16_sdwa s[0:1], v12, v9 src0_sel:BYTE_0 src1_sel:DWORD
	v_and_b32_sdwa v4, v6, s9 dst_sel:DWORD dst_unused:UNUSED_PAD src0_sel:WORD_1 src1_sel:DWORD
	s_nop 0
	v_cndmask_b32_e64 v12, v16, v5, s[0:1]
	v_and_b32_e32 v5, 0xffff0000, v10
	v_mul_f32_e32 v5, s8, v5
	v_cmp_ne_u16_e64 s[0:1], 1, v4
	s_waitcnt vmcnt(0)
	v_lshlrev_b32_e32 v4, 16, v7
	v_mul_f32_e32 v4, s8, v4
	v_cndmask_b32_e64 v10, v16, v5, s[0:1]
	v_cmp_ne_u16_sdwa s[0:1], v6, v9 src0_sel:BYTE_3 src1_sel:DWORD
	s_nop 1
	v_cndmask_b32_e64 v9, v16, v4, s[0:1]
.LBB18_12:
	s_or_b64 exec, exec, s[6:7]
.LBB18_13:
	s_or_b64 exec, exec, s[2:3]
.LBB18_14:
	s_or_b64 exec, exec, s[4:5]
	v_mbcnt_lo_u32_b32 v6, -1, 0
	v_mbcnt_hi_u32_b32 v6, -1, v6
	v_cmp_gt_f32_e64 s[0:1], v15, v12
	v_and_b32_e32 v7, 0x60, v6
	v_add_u32_e32 v7, 32, v7
	v_cndmask_b32_e64 v4, v12, v15, s[0:1]
	v_cmp_gt_f32_e64 s[0:1], v14, v13
	v_xor_b32_e32 v16, 16, v6
	v_xor_b32_e32 v22, 1, v6
	v_cndmask_b32_e64 v5, v13, v14, s[0:1]
	v_cmp_lt_i32_e64 s[0:1], v16, v7
	s_mov_b32 s2, 0x3fb8aa3b
	s_mov_b32 s3, 0xc2ce8ed0
	v_cndmask_b32_e64 v16, v6, v16, s[0:1]
	v_lshlrev_b32_e32 v18, 2, v16
	v_xor_b32_e32 v16, 8, v6
	v_cmp_lt_i32_e64 s[0:1], v16, v7
	s_mov_b32 s4, 0x42b17218
	v_mov_b32_e32 v23, 0x7f800000
	v_cndmask_b32_e64 v16, v6, v16, s[0:1]
	v_lshlrev_b32_e32 v19, 2, v16
	v_xor_b32_e32 v16, 4, v6
	v_cmp_lt_i32_e64 s[0:1], v16, v7
	s_nop 1
	v_cndmask_b32_e64 v16, v6, v16, s[0:1]
	v_lshlrev_b32_e32 v20, 2, v16
	v_xor_b32_e32 v16, 2, v6
	v_cmp_lt_i32_e64 s[0:1], v16, v7
	s_nop 1
	v_cndmask_b32_e64 v16, v6, v16, s[0:1]
	v_cmp_gt_f32_e64 s[0:1], v5, v11
	v_lshlrev_b32_e32 v21, 2, v16
	s_nop 0
	v_cndmask_b32_e64 v5, v11, v5, s[0:1]
	v_cmp_gt_f32_e64 s[0:1], v5, v8
	s_nop 1
	v_cndmask_b32_e64 v5, v8, v5, s[0:1]
	ds_bpermute_b32 v16, v18, v5
	v_cmp_gt_f32_e64 s[0:1], v4, v10
	s_nop 1
	v_cndmask_b32_e64 v4, v10, v4, s[0:1]
	v_cmp_gt_f32_e64 s[0:1], v4, v9
	s_nop 1
	v_cndmask_b32_e64 v4, v9, v4, s[0:1]
	s_waitcnt lgkmcnt(0)
	v_cmp_lt_f32_e64 s[0:1], v5, v16
	ds_bpermute_b32 v17, v18, v4
	s_nop 0
	v_cndmask_b32_e64 v5, v5, v16, s[0:1]
	ds_bpermute_b32 v16, v19, v5
	s_waitcnt lgkmcnt(1)
	v_cmp_lt_f32_e64 s[0:1], v4, v17
	s_nop 1
	v_cndmask_b32_e64 v4, v4, v17, s[0:1]
	s_waitcnt lgkmcnt(0)
	v_cmp_lt_f32_e64 s[0:1], v5, v16
	ds_bpermute_b32 v17, v19, v4
	s_nop 0
	v_cndmask_b32_e64 v5, v5, v16, s[0:1]
	ds_bpermute_b32 v16, v20, v5
	v_cmp_lt_i32_e64 s[0:1], v22, v7
	s_nop 1
	v_cndmask_b32_e64 v6, v6, v22, s[0:1]
	s_waitcnt lgkmcnt(1)
	v_cmp_lt_f32_e64 s[0:1], v4, v17
	v_lshlrev_b32_e32 v22, 2, v6
	s_nop 0
	v_cndmask_b32_e64 v4, v4, v17, s[0:1]
	s_waitcnt lgkmcnt(0)
	v_cmp_lt_f32_e64 s[0:1], v5, v16
	ds_bpermute_b32 v7, v20, v4
	s_nop 0
	v_cndmask_b32_e64 v5, v5, v16, s[0:1]
	ds_bpermute_b32 v16, v21, v5
	s_waitcnt lgkmcnt(1)
	v_cmp_lt_f32_e64 s[0:1], v4, v7
	s_nop 1
	v_cndmask_b32_e64 v4, v4, v7, s[0:1]
	s_waitcnt lgkmcnt(0)
	v_cmp_lt_f32_e64 s[0:1], v5, v16
	ds_bpermute_b32 v6, v21, v4
	s_nop 0
	v_cndmask_b32_e64 v5, v5, v16, s[0:1]
	ds_bpermute_b32 v7, v22, v5
	s_waitcnt lgkmcnt(1)
	v_cmp_lt_f32_e64 s[0:1], v4, v6
	s_nop 1
	v_cndmask_b32_e64 v4, v4, v6, s[0:1]
	s_waitcnt lgkmcnt(0)
	v_cmp_lt_f32_e64 s[0:1], v5, v7
	ds_bpermute_b32 v6, v22, v4
	s_nop 0
	v_cndmask_b32_e64 v16, v5, v7, s[0:1]
	v_sub_f32_e32 v5, v14, v16
	v_mul_f32_e32 v7, 0x3fb8aa3b, v5
	v_fma_f32 v14, v5, s2, -v7
	v_rndne_f32_e32 v17, v7
	v_fmac_f32_e32 v14, 0x32a5705f, v5
	v_sub_f32_e32 v7, v7, v17
	v_add_f32_e32 v7, v7, v14
	v_exp_f32_e32 v7, v7
	v_cvt_i32_f32_e32 v14, v17
	s_waitcnt lgkmcnt(0)
	v_cmp_lt_f32_e64 s[0:1], v4, v6
	v_sub_f32_e32 v8, v8, v16
	s_nop 0
	v_cndmask_b32_e64 v4, v4, v6, s[0:1]
	v_ldexp_f32 v6, v7, v14
	v_sub_f32_e32 v7, v13, v16
	v_mul_f32_e32 v13, 0x3fb8aa3b, v7
	v_fma_f32 v14, v7, s2, -v13
	v_rndne_f32_e32 v17, v13
	v_fmac_f32_e32 v14, 0x32a5705f, v7
	v_sub_f32_e32 v13, v13, v17
	v_add_f32_e32 v13, v13, v14
	v_cmp_ngt_f32_e64 s[0:1], s3, v5
	v_exp_f32_e32 v13, v13
	v_cvt_i32_f32_e32 v14, v17
	v_cndmask_b32_e64 v6, 0, v6, s[0:1]
	v_cmp_nlt_f32_e64 s[0:1], s4, v5
	v_sub_f32_e32 v10, v10, v4
	v_ldexp_f32 v5, v13, v14
	v_cndmask_b32_e64 v17, v23, v6, s[0:1]
	v_sub_f32_e32 v6, v11, v16
	v_mul_f32_e32 v11, 0x3fb8aa3b, v6
	v_fma_f32 v13, v6, s2, -v11
	v_rndne_f32_e32 v14, v11
	v_fmac_f32_e32 v13, 0x32a5705f, v6
	v_sub_f32_e32 v11, v11, v14
	v_add_f32_e32 v11, v11, v13
	v_exp_f32_e32 v11, v11
	v_cvt_i32_f32_e32 v13, v14
	v_cmp_ngt_f32_e64 s[0:1], s3, v7
	v_sub_f32_e32 v9, v9, v4
	s_nop 0
	v_cndmask_b32_e64 v5, 0, v5, s[0:1]
	v_cmp_nlt_f32_e64 s[0:1], s4, v7
	v_ldexp_f32 v7, v11, v13
	v_mul_f32_e32 v11, 0x3fb8aa3b, v8
	v_fma_f32 v13, v8, s2, -v11
	v_rndne_f32_e32 v24, v11
	v_fmac_f32_e32 v13, 0x32a5705f, v8
	v_sub_f32_e32 v11, v11, v24
	v_add_f32_e32 v11, v11, v13
	v_exp_f32_e32 v11, v11
	v_cvt_i32_f32_e32 v24, v24
	v_cndmask_b32_e64 v14, v23, v5, s[0:1]
	v_cmp_ngt_f32_e64 s[0:1], s3, v6
	v_add_f32_e32 v5, v17, v14
	s_nop 0
	v_cndmask_b32_e64 v7, 0, v7, s[0:1]
	v_cmp_nlt_f32_e64 s[0:1], s4, v6
	v_ldexp_f32 v6, v11, v24
	s_nop 0
	v_cndmask_b32_e64 v13, v23, v7, s[0:1]
	v_sub_f32_e32 v7, v15, v4
	v_mul_f32_e32 v11, 0x3fb8aa3b, v7
	v_fma_f32 v15, v7, s2, -v11
	v_rndne_f32_e32 v24, v11
	v_fmac_f32_e32 v15, 0x32a5705f, v7
	v_sub_f32_e32 v11, v11, v24
	v_add_f32_e32 v11, v11, v15
	v_cmp_ngt_f32_e64 s[0:1], s3, v8
	v_exp_f32_e32 v15, v11
	v_cvt_i32_f32_e32 v24, v24
	v_cndmask_b32_e64 v6, 0, v6, s[0:1]
	v_cmp_nlt_f32_e64 s[0:1], s4, v8
	v_add_f32_e32 v5, v5, v13
	s_nop 0
	v_cndmask_b32_e64 v11, v23, v6, s[0:1]
	v_sub_f32_e32 v6, v12, v4
	v_mul_f32_e32 v8, 0x3fb8aa3b, v6
	v_add_f32_e32 v25, v5, v11
	v_ldexp_f32 v5, v15, v24
	v_fma_f32 v12, v6, s2, -v8
	v_rndne_f32_e32 v15, v8
	v_fmac_f32_e32 v12, 0x32a5705f, v6
	v_sub_f32_e32 v8, v8, v15
	v_add_f32_e32 v8, v8, v12
	v_exp_f32_e32 v12, v8
	v_cvt_i32_f32_e32 v15, v15
	v_cmp_ngt_f32_e64 s[0:1], s3, v7
	s_nop 1
	v_cndmask_b32_e64 v5, 0, v5, s[0:1]
	v_cmp_nlt_f32_e64 s[0:1], s4, v7
	v_mul_f32_e32 v7, 0x3fb8aa3b, v10
	s_nop 0
	v_cndmask_b32_e64 v8, v23, v5, s[0:1]
	v_ldexp_f32 v5, v12, v15
	v_fma_f32 v12, v10, s2, -v7
	v_rndne_f32_e32 v15, v7
	v_fmac_f32_e32 v12, 0x32a5705f, v10
	v_sub_f32_e32 v7, v7, v15
	v_add_f32_e32 v7, v7, v12
	v_exp_f32_e32 v12, v7
	v_cvt_i32_f32_e32 v15, v15
	v_cmp_ngt_f32_e64 s[0:1], s3, v6
	s_nop 1
	v_cndmask_b32_e64 v5, 0, v5, s[0:1]
	v_cmp_nlt_f32_e64 s[0:1], s4, v6
	v_ldexp_f32 v6, v12, v15
	v_mul_f32_e32 v12, 0x3fb8aa3b, v9
	v_fma_f32 v15, v9, s2, -v12
	v_rndne_f32_e32 v24, v12
	v_fmac_f32_e32 v15, 0x32a5705f, v9
	v_sub_f32_e32 v12, v12, v24
	v_add_f32_e32 v12, v12, v15
	v_exp_f32_e32 v12, v12
	v_cvt_i32_f32_e32 v15, v24
	v_cndmask_b32_e64 v7, v23, v5, s[0:1]
	v_cmp_ngt_f32_e64 s[0:1], s3, v10
	v_add_f32_e32 v5, v8, v7
	s_nop 0
	v_cndmask_b32_e64 v6, 0, v6, s[0:1]
	v_cmp_nlt_f32_e64 s[0:1], s4, v10
	s_nop 1
	v_cndmask_b32_e64 v6, v23, v6, s[0:1]
	v_add_f32_e32 v10, v5, v6
	v_ldexp_f32 v5, v12, v15
	v_cmp_ngt_f32_e64 s[0:1], s3, v9
	s_nop 1
	v_cndmask_b32_e64 v5, 0, v5, s[0:1]
	v_cmp_nlt_f32_e64 s[0:1], s4, v9
	s_nop 1
	v_cndmask_b32_e64 v5, v23, v5, s[0:1]
	v_add_f32_e32 v9, v10, v5
	ds_bpermute_b32 v10, v18, v25
	ds_bpermute_b32 v12, v18, v9
	s_waitcnt lgkmcnt(1)
	v_add_f32_e32 v10, v25, v10
	s_waitcnt lgkmcnt(0)
	v_add_f32_e32 v9, v9, v12
	ds_bpermute_b32 v12, v19, v10
	ds_bpermute_b32 v15, v19, v9
	s_waitcnt lgkmcnt(1)
	v_add_f32_e32 v10, v10, v12
	s_waitcnt lgkmcnt(0)
	;; [unrolled: 6-line block ×4, first 2 shown]
	v_add_f32_e32 v9, v9, v15
	ds_bpermute_b32 v15, v22, v12
	ds_bpermute_b32 v10, v22, v9
	s_and_saveexec_b64 s[0:1], vcc
	s_cbranch_execz .LBB18_35
; %bb.15:
	v_mov_b32_e32 v18, s12
	v_mov_b32_e32 v19, s13
	v_lshl_add_u64 v[2:3], v[2:3], 1, v[18:19]
	v_cmp_le_i32_e64 s[0:1], s10, v0
	v_cmp_gt_i32_e32 vcc, s10, v0
	s_and_saveexec_b64 s[4:5], vcc
	s_cbranch_execz .LBB18_25
; %bb.16:
	s_mov_b32 s2, 0xc61c4000
	v_cmp_neq_f32_e64 s[2:3], s2, v16
	s_waitcnt lgkmcnt(1)
	v_add_f32_e32 v0, v12, v15
	v_mov_b32_e32 v12, 0
	v_mov_b32_e32 v15, 0
	s_and_saveexec_b64 s[6:7], s[2:3]
	s_cbranch_execz .LBB18_18
; %bb.17:
	v_div_scale_f32 v15, s[8:9], v0, v0, v17
	v_rcp_f32_e32 v16, v15
	v_div_scale_f32 v18, vcc, v17, v0, v17
	v_fma_f32 v19, -v15, v16, 1.0
	v_fmac_f32_e32 v16, v19, v16
	v_mul_f32_e32 v19, v18, v16
	v_fma_f32 v20, -v15, v19, v18
	v_fmac_f32_e32 v19, v20, v16
	v_fma_f32 v15, -v15, v19, v18
	v_div_fmas_f32 v15, v15, v16, v19
	v_div_fixup_f32 v15, v15, v0, v17
	v_cvt_pk_bf16_f32 v15, v15, s0
.LBB18_18:
	s_or_b64 exec, exec, s[6:7]
	s_and_saveexec_b64 s[6:7], s[2:3]
	s_cbranch_execz .LBB18_20
; %bb.19:
	v_div_scale_f32 v12, s[8:9], v0, v0, v14
	v_rcp_f32_e32 v16, v12
	v_div_scale_f32 v17, vcc, v14, v0, v14
	v_fma_f32 v18, -v12, v16, 1.0
	v_fmac_f32_e32 v16, v18, v16
	v_mul_f32_e32 v18, v17, v16
	v_fma_f32 v19, -v12, v18, v17
	v_fmac_f32_e32 v18, v19, v16
	v_fma_f32 v12, -v12, v18, v17
	v_div_fmas_f32 v12, v12, v16, v18
	v_div_fixup_f32 v12, v12, v0, v14
	v_cvt_pk_bf16_f32 v12, v12, s0
.LBB18_20:
	s_or_b64 exec, exec, s[6:7]
	v_mov_b32_e32 v14, 0
	v_mov_b32_e32 v16, 0
	s_and_saveexec_b64 s[6:7], s[2:3]
	s_cbranch_execz .LBB18_22
; %bb.21:
	v_div_scale_f32 v16, s[8:9], v0, v0, v13
	v_rcp_f32_e32 v17, v16
	v_div_scale_f32 v18, vcc, v13, v0, v13
	v_fma_f32 v19, -v16, v17, 1.0
	v_fmac_f32_e32 v17, v19, v17
	v_mul_f32_e32 v19, v18, v17
	v_fma_f32 v20, -v16, v19, v18
	v_fmac_f32_e32 v19, v20, v17
	v_fma_f32 v16, -v16, v19, v18
	v_div_fmas_f32 v16, v16, v17, v19
	v_div_fixup_f32 v13, v16, v0, v13
	v_cvt_pk_bf16_f32 v16, v13, s0
.LBB18_22:
	s_or_b64 exec, exec, s[6:7]
	s_and_saveexec_b64 s[6:7], s[2:3]
	s_cbranch_execz .LBB18_24
; %bb.23:
	v_div_scale_f32 v13, s[2:3], v0, v0, v11
	v_rcp_f32_e32 v14, v13
	v_div_scale_f32 v17, vcc, v11, v0, v11
	v_fma_f32 v18, -v13, v14, 1.0
	v_fmac_f32_e32 v14, v18, v14
	v_mul_f32_e32 v18, v17, v14
	v_fma_f32 v19, -v13, v18, v17
	v_fmac_f32_e32 v18, v19, v14
	v_fma_f32 v13, -v13, v18, v17
	v_div_fmas_f32 v13, v13, v14, v18
	v_div_fixup_f32 v0, v13, v0, v11
	v_cvt_pk_bf16_f32 v14, v0, s0
.LBB18_24:
	s_or_b64 exec, exec, s[6:7]
	s_mov_b32 s2, 0x5040100
	v_perm_b32 v13, v14, v16, s2
	v_perm_b32 v12, v12, v15, s2
	global_store_dwordx2 v[2:3], v[12:13], off
.LBB18_25:
	s_or_b64 exec, exec, s[4:5]
	v_cmp_ne_u32_e32 vcc, 1, v1
	s_xor_b64 s[0:1], s[0:1], -1
	s_and_b64 s[0:1], vcc, s[0:1]
	s_and_b64 exec, exec, s[0:1]
	s_cbranch_execz .LBB18_35
; %bb.26:
	s_mov_b32 s0, 0xc61c4000
	v_cmp_neq_f32_e64 s[0:1], s0, v4
	s_waitcnt lgkmcnt(0)
	v_add_f32_e32 v0, v9, v10
	v_mov_b32_e32 v1, 0
	v_mov_b32_e32 v4, 0
	s_and_saveexec_b64 s[2:3], s[0:1]
	s_cbranch_execz .LBB18_28
; %bb.27:
	v_div_scale_f32 v4, s[4:5], v0, v0, v8
	v_rcp_f32_e32 v9, v4
	v_div_scale_f32 v10, vcc, v8, v0, v8
	v_fma_f32 v11, -v4, v9, 1.0
	v_fmac_f32_e32 v9, v11, v9
	v_mul_f32_e32 v11, v10, v9
	v_fma_f32 v12, -v4, v11, v10
	v_fmac_f32_e32 v11, v12, v9
	v_fma_f32 v4, -v4, v11, v10
	v_div_fmas_f32 v4, v4, v9, v11
	v_div_fixup_f32 v4, v4, v0, v8
	v_cvt_pk_bf16_f32 v4, v4, s0
.LBB18_28:
	s_or_b64 exec, exec, s[2:3]
	s_and_saveexec_b64 s[2:3], s[0:1]
	s_cbranch_execz .LBB18_30
; %bb.29:
	v_div_scale_f32 v1, s[4:5], v0, v0, v7
	v_rcp_f32_e32 v8, v1
	v_div_scale_f32 v9, vcc, v7, v0, v7
	v_fma_f32 v10, -v1, v8, 1.0
	v_fmac_f32_e32 v8, v10, v8
	v_mul_f32_e32 v10, v9, v8
	v_fma_f32 v11, -v1, v10, v9
	v_fmac_f32_e32 v10, v11, v8
	v_fma_f32 v1, -v1, v10, v9
	v_div_fmas_f32 v1, v1, v8, v10
	v_div_fixup_f32 v1, v1, v0, v7
	v_cvt_pk_bf16_f32 v1, v1, s0
.LBB18_30:
	s_or_b64 exec, exec, s[2:3]
	v_mov_b32_e32 v7, 0
	v_mov_b32_e32 v8, 0
	s_and_saveexec_b64 s[2:3], s[0:1]
	s_cbranch_execz .LBB18_32
; %bb.31:
	v_div_scale_f32 v8, s[4:5], v0, v0, v6
	v_rcp_f32_e32 v9, v8
	v_div_scale_f32 v10, vcc, v6, v0, v6
	v_fma_f32 v11, -v8, v9, 1.0
	v_fmac_f32_e32 v9, v11, v9
	v_mul_f32_e32 v11, v10, v9
	v_fma_f32 v12, -v8, v11, v10
	v_fmac_f32_e32 v11, v12, v9
	v_fma_f32 v8, -v8, v11, v10
	v_div_fmas_f32 v8, v8, v9, v11
	v_div_fixup_f32 v6, v8, v0, v6
	v_cvt_pk_bf16_f32 v8, v6, s0
.LBB18_32:
	s_or_b64 exec, exec, s[2:3]
	s_and_saveexec_b64 s[2:3], s[0:1]
	s_cbranch_execz .LBB18_34
; %bb.33:
	v_div_scale_f32 v6, s[0:1], v0, v0, v5
	v_rcp_f32_e32 v7, v6
	v_div_scale_f32 v9, vcc, v5, v0, v5
	v_fma_f32 v10, -v6, v7, 1.0
	v_fmac_f32_e32 v7, v10, v7
	v_mul_f32_e32 v10, v9, v7
	v_fma_f32 v11, -v6, v10, v9
	v_fmac_f32_e32 v10, v11, v7
	v_fma_f32 v6, -v6, v10, v9
	v_div_fmas_f32 v6, v6, v7, v10
	v_div_fixup_f32 v0, v6, v0, v5
	v_cvt_pk_bf16_f32 v7, v0, s0
.LBB18_34:
	s_or_b64 exec, exec, s[2:3]
	s_mov_b32 s11, 0
	s_mov_b32 s0, 0x5040100
	v_lshl_add_u64 v[2:3], s[10:11], 1, v[2:3]
	v_perm_b32 v5, v7, v8, s0
	v_perm_b32 v4, v1, v4, s0
	global_store_dwordx2 v[2:3], v[4:5], off
.LBB18_35:
	s_endpgm
	.section	.rodata,"a",@progbits
	.p2align	6, 0x0
	.amdhsa_kernel _Z34scaled_masked_softmax_warp_forwardI14__hip_bfloat16S0_fLi7EEvPT0_PKT_PKhT1_iii
		.amdhsa_group_segment_fixed_size 0
		.amdhsa_private_segment_fixed_size 0
		.amdhsa_kernarg_size 296
		.amdhsa_user_sgpr_count 2
		.amdhsa_user_sgpr_dispatch_ptr 0
		.amdhsa_user_sgpr_queue_ptr 0
		.amdhsa_user_sgpr_kernarg_segment_ptr 1
		.amdhsa_user_sgpr_dispatch_id 0
		.amdhsa_user_sgpr_kernarg_preload_length 0
		.amdhsa_user_sgpr_kernarg_preload_offset 0
		.amdhsa_user_sgpr_private_segment_size 0
		.amdhsa_uses_dynamic_stack 0
		.amdhsa_enable_private_segment 0
		.amdhsa_system_sgpr_workgroup_id_x 1
		.amdhsa_system_sgpr_workgroup_id_y 1
		.amdhsa_system_sgpr_workgroup_id_z 1
		.amdhsa_system_sgpr_workgroup_info 0
		.amdhsa_system_vgpr_workitem_id 1
		.amdhsa_next_free_vgpr 26
		.amdhsa_next_free_sgpr 18
		.amdhsa_accum_offset 28
		.amdhsa_reserve_vcc 1
		.amdhsa_float_round_mode_32 0
		.amdhsa_float_round_mode_16_64 0
		.amdhsa_float_denorm_mode_32 3
		.amdhsa_float_denorm_mode_16_64 3
		.amdhsa_dx10_clamp 1
		.amdhsa_ieee_mode 1
		.amdhsa_fp16_overflow 0
		.amdhsa_tg_split 0
		.amdhsa_exception_fp_ieee_invalid_op 0
		.amdhsa_exception_fp_denorm_src 0
		.amdhsa_exception_fp_ieee_div_zero 0
		.amdhsa_exception_fp_ieee_overflow 0
		.amdhsa_exception_fp_ieee_underflow 0
		.amdhsa_exception_fp_ieee_inexact 0
		.amdhsa_exception_int_div_zero 0
	.end_amdhsa_kernel
	.section	.text._Z34scaled_masked_softmax_warp_forwardI14__hip_bfloat16S0_fLi7EEvPT0_PKT_PKhT1_iii,"axG",@progbits,_Z34scaled_masked_softmax_warp_forwardI14__hip_bfloat16S0_fLi7EEvPT0_PKT_PKhT1_iii,comdat
.Lfunc_end18:
	.size	_Z34scaled_masked_softmax_warp_forwardI14__hip_bfloat16S0_fLi7EEvPT0_PKT_PKhT1_iii, .Lfunc_end18-_Z34scaled_masked_softmax_warp_forwardI14__hip_bfloat16S0_fLi7EEvPT0_PKT_PKhT1_iii
                                        ; -- End function
	.set _Z34scaled_masked_softmax_warp_forwardI14__hip_bfloat16S0_fLi7EEvPT0_PKT_PKhT1_iii.num_vgpr, 26
	.set _Z34scaled_masked_softmax_warp_forwardI14__hip_bfloat16S0_fLi7EEvPT0_PKT_PKhT1_iii.num_agpr, 0
	.set _Z34scaled_masked_softmax_warp_forwardI14__hip_bfloat16S0_fLi7EEvPT0_PKT_PKhT1_iii.numbered_sgpr, 18
	.set _Z34scaled_masked_softmax_warp_forwardI14__hip_bfloat16S0_fLi7EEvPT0_PKT_PKhT1_iii.num_named_barrier, 0
	.set _Z34scaled_masked_softmax_warp_forwardI14__hip_bfloat16S0_fLi7EEvPT0_PKT_PKhT1_iii.private_seg_size, 0
	.set _Z34scaled_masked_softmax_warp_forwardI14__hip_bfloat16S0_fLi7EEvPT0_PKT_PKhT1_iii.uses_vcc, 1
	.set _Z34scaled_masked_softmax_warp_forwardI14__hip_bfloat16S0_fLi7EEvPT0_PKT_PKhT1_iii.uses_flat_scratch, 0
	.set _Z34scaled_masked_softmax_warp_forwardI14__hip_bfloat16S0_fLi7EEvPT0_PKT_PKhT1_iii.has_dyn_sized_stack, 0
	.set _Z34scaled_masked_softmax_warp_forwardI14__hip_bfloat16S0_fLi7EEvPT0_PKT_PKhT1_iii.has_recursion, 0
	.set _Z34scaled_masked_softmax_warp_forwardI14__hip_bfloat16S0_fLi7EEvPT0_PKT_PKhT1_iii.has_indirect_call, 0
	.section	.AMDGPU.csdata,"",@progbits
; Kernel info:
; codeLenInByte = 3244
; TotalNumSgprs: 24
; NumVgprs: 26
; NumAgprs: 0
; TotalNumVgprs: 26
; ScratchSize: 0
; MemoryBound: 0
; FloatMode: 240
; IeeeMode: 1
; LDSByteSize: 0 bytes/workgroup (compile time only)
; SGPRBlocks: 2
; VGPRBlocks: 3
; NumSGPRsForWavesPerEU: 24
; NumVGPRsForWavesPerEU: 26
; AccumOffset: 28
; Occupancy: 8
; WaveLimiterHint : 0
; COMPUTE_PGM_RSRC2:SCRATCH_EN: 0
; COMPUTE_PGM_RSRC2:USER_SGPR: 2
; COMPUTE_PGM_RSRC2:TRAP_HANDLER: 0
; COMPUTE_PGM_RSRC2:TGID_X_EN: 1
; COMPUTE_PGM_RSRC2:TGID_Y_EN: 1
; COMPUTE_PGM_RSRC2:TGID_Z_EN: 1
; COMPUTE_PGM_RSRC2:TIDIG_COMP_CNT: 1
; COMPUTE_PGM_RSRC3_GFX90A:ACCUM_OFFSET: 6
; COMPUTE_PGM_RSRC3_GFX90A:TG_SPLIT: 0
	.section	.text._Z34scaled_masked_softmax_warp_forwardI14__hip_bfloat16S0_fLi8EEvPT0_PKT_PKhT1_iii,"axG",@progbits,_Z34scaled_masked_softmax_warp_forwardI14__hip_bfloat16S0_fLi8EEvPT0_PKT_PKhT1_iii,comdat
	.protected	_Z34scaled_masked_softmax_warp_forwardI14__hip_bfloat16S0_fLi8EEvPT0_PKT_PKhT1_iii ; -- Begin function _Z34scaled_masked_softmax_warp_forwardI14__hip_bfloat16S0_fLi8EEvPT0_PKT_PKhT1_iii
	.globl	_Z34scaled_masked_softmax_warp_forwardI14__hip_bfloat16S0_fLi8EEvPT0_PKT_PKhT1_iii
	.p2align	8
	.type	_Z34scaled_masked_softmax_warp_forwardI14__hip_bfloat16S0_fLi8EEvPT0_PKT_PKhT1_iii,@function
_Z34scaled_masked_softmax_warp_forwardI14__hip_bfloat16S0_fLi8EEvPT0_PKT_PKhT1_iii: ; @_Z34scaled_masked_softmax_warp_forwardI14__hip_bfloat16S0_fLi8EEvPT0_PKT_PKhT1_iii
; %bb.0:
	s_load_dword s5, s[0:1], 0x34
	s_load_dwordx4 s[8:11], s[0:1], 0x18
	s_load_dwordx2 s[16:17], s[0:1], 0x28
	s_waitcnt lgkmcnt(0)
	s_lshr_b32 s18, s5, 16
	s_cmp_eq_u32 s11, 1
	s_mov_b32 s5, s2
	s_cbranch_scc1 .LBB19_2
; %bb.1:
	s_mul_i32 s5, s16, s4
	s_add_i32 s5, s5, s2
.LBB19_2:
	s_load_dwordx4 s[12:15], s[0:1], 0x0
	s_load_dwordx2 s[6:7], s[0:1], 0x10
	s_mul_i32 s1, s17, s4
	s_add_i32 s1, s1, s3
	s_mul_i32 s1, s16, s1
	s_and_b32 s0, 0xffff, s18
	s_add_i32 s1, s1, s2
	s_mul_i32 s1, s1, s0
	v_bfe_u32 v4, v0, 10, 10
	v_lshlrev_b32_e32 v0, 2, v0
	v_add_u32_e32 v1, s1, v4
	v_and_b32_e32 v0, 0xffc, v0
	v_mad_u64_u32 v[2:3], s[2:3], v1, s10, v[0:1]
	v_ashrrev_i32_e32 v3, 31, v2
	v_cmp_gt_i32_e32 vcc, s9, v1
                                        ; implicit-def: $vgpr14
                                        ; implicit-def: $vgpr13
                                        ; implicit-def: $vgpr10
                                        ; implicit-def: $vgpr8
                                        ; implicit-def: $vgpr12
                                        ; implicit-def: $vgpr11
                                        ; implicit-def: $vgpr9
                                        ; implicit-def: $vgpr1
	s_and_saveexec_b64 s[2:3], vcc
	s_cbranch_execz .LBB19_12
; %bb.3:
	s_mul_i32 s0, s5, s0
	s_waitcnt lgkmcnt(0)
	v_mov_b32_e32 v6, s14
	v_mov_b32_e32 v7, s15
	v_add_u32_e32 v1, s0, v4
	v_lshl_add_u64 v[4:5], v[2:3], 1, v[6:7]
	v_mad_u64_u32 v[6:7], s[0:1], v1, s10, v[0:1]
	v_ashrrev_i32_e32 v7, 31, v6
	v_lshl_add_u64 v[6:7], s[6:7], 0, v[6:7]
	v_cmp_gt_i32_e64 s[0:1], s10, v0
	v_mov_b32_e32 v14, 0xff800000
	v_mov_b32_e32 v13, 0xff800000
	;; [unrolled: 1-line block ×4, first 2 shown]
	s_and_saveexec_b64 s[4:5], s[0:1]
	s_cbranch_execz .LBB19_7
; %bb.4:
	global_load_dword v1, v[6:7], off
	global_load_dword v10, v[4:5], off offset:2
	global_load_ushort v8, v[4:5], off offset:6
	v_mov_b32_e32 v9, 1
	s_movk_i32 s6, 0xff
	v_mov_b32_e32 v11, 0xc61c4000
	v_mov_b32_e32 v14, 0xc61c4000
	s_waitcnt vmcnt(2)
	v_lshrrev_b32_e32 v12, 8, v1
	v_cmp_ne_u16_sdwa s[14:15], v1, v9 src0_sel:BYTE_0 src1_sel:DWORD
	s_and_saveexec_b64 s[0:1], s[14:15]
	s_cbranch_execz .LBB19_6
; %bb.5:
	global_load_ushort v13, v[4:5], off
	s_waitcnt vmcnt(0)
	v_lshlrev_b32_e32 v13, 16, v13
	v_mul_f32_e32 v14, s8, v13
.LBB19_6:
	s_or_b64 exec, exec, s[0:1]
	s_waitcnt vmcnt(1)
	v_lshlrev_b32_e32 v13, 16, v10
	v_and_b32_sdwa v15, v1, s6 dst_sel:DWORD dst_unused:UNUSED_PAD src0_sel:WORD_1 src1_sel:DWORD
	v_mul_f32_e32 v13, s8, v13
	v_cmp_ne_u16_sdwa s[0:1], v12, v9 src0_sel:BYTE_0 src1_sel:DWORD
	v_and_b32_e32 v10, 0xffff0000, v10
	v_mul_f32_e32 v10, s8, v10
	v_cndmask_b32_e64 v13, v11, v13, s[0:1]
	v_cmp_ne_u16_e64 s[0:1], 1, v15
	s_waitcnt vmcnt(0)
	v_lshlrev_b32_e32 v8, 16, v8
	v_mul_f32_e32 v8, s8, v8
	v_cndmask_b32_e64 v10, v11, v10, s[0:1]
	v_cmp_ne_u16_sdwa s[0:1], v1, v9 src0_sel:BYTE_3 src1_sel:DWORD
	s_nop 1
	v_cndmask_b32_e64 v8, v11, v8, s[0:1]
.LBB19_7:
	s_or_b64 exec, exec, s[4:5]
	v_add_u32_e32 v1, 0x80, v0
	v_cmp_gt_i32_e64 s[0:1], s10, v1
	v_mov_b32_e32 v12, 0xff800000
	v_mov_b32_e32 v11, 0xff800000
	;; [unrolled: 1-line block ×4, first 2 shown]
	s_and_saveexec_b64 s[4:5], s[0:1]
	s_cbranch_execz .LBB19_11
; %bb.8:
	global_load_dword v1, v[6:7], off offset:128
	global_load_dword v9, v[4:5], off offset:258
	global_load_ushort v15, v[4:5], off offset:262
	v_mov_b32_e32 v6, 1
	s_movk_i32 s6, 0xff
	v_mov_b32_e32 v7, 0xc61c4000
	v_mov_b32_e32 v12, 0xc61c4000
	s_waitcnt vmcnt(2)
	v_lshrrev_b32_e32 v11, 8, v1
	v_cmp_ne_u16_sdwa s[14:15], v1, v6 src0_sel:BYTE_0 src1_sel:DWORD
	s_and_saveexec_b64 s[0:1], s[14:15]
	s_cbranch_execz .LBB19_10
; %bb.9:
	global_load_ushort v4, v[4:5], off offset:256
	s_waitcnt vmcnt(0)
	v_lshlrev_b32_e32 v4, 16, v4
	v_mul_f32_e32 v12, s8, v4
.LBB19_10:
	s_or_b64 exec, exec, s[0:1]
	s_waitcnt vmcnt(1)
	v_lshlrev_b32_e32 v5, 16, v9
	v_mul_f32_e32 v5, s8, v5
	v_cmp_ne_u16_sdwa s[0:1], v11, v6 src0_sel:BYTE_0 src1_sel:DWORD
	v_and_b32_sdwa v4, v1, s6 dst_sel:DWORD dst_unused:UNUSED_PAD src0_sel:WORD_1 src1_sel:DWORD
	s_nop 0
	v_cndmask_b32_e64 v11, v7, v5, s[0:1]
	v_and_b32_e32 v5, 0xffff0000, v9
	v_mul_f32_e32 v5, s8, v5
	v_cmp_ne_u16_e64 s[0:1], 1, v4
	s_waitcnt vmcnt(0)
	v_lshlrev_b32_e32 v4, 16, v15
	v_mul_f32_e32 v4, s8, v4
	v_cndmask_b32_e64 v9, v7, v5, s[0:1]
	v_cmp_ne_u16_sdwa s[0:1], v1, v6 src0_sel:BYTE_3 src1_sel:DWORD
	s_nop 1
	v_cndmask_b32_e64 v1, v7, v4, s[0:1]
.LBB19_11:
	s_or_b64 exec, exec, s[4:5]
.LBB19_12:
	s_or_b64 exec, exec, s[2:3]
	v_cmp_gt_f32_e64 s[0:1], v14, v13
	v_mbcnt_lo_u32_b32 v5, -1, 0
	v_mbcnt_hi_u32_b32 v5, -1, v5
	v_cndmask_b32_e64 v4, v13, v14, s[0:1]
	v_cmp_gt_f32_e64 s[0:1], v4, v10
	v_and_b32_e32 v6, 0x60, v5
	v_add_u32_e32 v6, 32, v6
	v_cndmask_b32_e64 v4, v10, v4, s[0:1]
	v_cmp_gt_f32_e64 s[0:1], v4, v8
	v_xor_b32_e32 v7, 16, v5
	s_mov_b32 s2, 0x3fb8aa3b
	v_cndmask_b32_e64 v4, v8, v4, s[0:1]
	v_cmp_gt_f32_e64 s[0:1], v4, v12
	s_mov_b32 s3, 0xc2ce8ed0
	s_mov_b32 s4, 0x42b17218
	v_cndmask_b32_e64 v4, v12, v4, s[0:1]
	v_cmp_gt_f32_e64 s[0:1], v4, v11
	v_mov_b32_e32 v21, 0x7f800000
	s_nop 0
	v_cndmask_b32_e64 v4, v11, v4, s[0:1]
	v_cmp_gt_f32_e64 s[0:1], v4, v9
	s_nop 1
	v_cndmask_b32_e64 v4, v9, v4, s[0:1]
	v_cmp_gt_f32_e64 s[0:1], v4, v1
	s_nop 1
	v_cndmask_b32_e64 v4, v1, v4, s[0:1]
	v_cmp_lt_i32_e64 s[0:1], v7, v6
	s_nop 1
	v_cndmask_b32_e64 v7, v5, v7, s[0:1]
	v_lshlrev_b32_e32 v15, 2, v7
	ds_bpermute_b32 v7, v15, v4
	s_waitcnt lgkmcnt(0)
	v_cmp_lt_f32_e64 s[0:1], v4, v7
	s_nop 1
	v_cndmask_b32_e64 v4, v4, v7, s[0:1]
	v_xor_b32_e32 v7, 8, v5
	v_cmp_lt_i32_e64 s[0:1], v7, v6
	s_nop 1
	v_cndmask_b32_e64 v7, v5, v7, s[0:1]
	v_lshlrev_b32_e32 v16, 2, v7
	ds_bpermute_b32 v7, v16, v4
	s_waitcnt lgkmcnt(0)
	v_cmp_lt_f32_e64 s[0:1], v4, v7
	s_nop 1
	v_cndmask_b32_e64 v4, v4, v7, s[0:1]
	v_xor_b32_e32 v7, 4, v5
	;; [unrolled: 10-line block ×4, first 2 shown]
	v_cmp_lt_i32_e64 s[0:1], v7, v6
	s_nop 1
	v_cndmask_b32_e64 v5, v5, v7, s[0:1]
	v_lshlrev_b32_e32 v19, 2, v5
	ds_bpermute_b32 v5, v19, v4
	s_waitcnt lgkmcnt(0)
	v_cmp_lt_f32_e64 s[0:1], v4, v5
	s_nop 1
	v_cndmask_b32_e64 v4, v4, v5, s[0:1]
	v_sub_f32_e32 v5, v14, v4
	v_mul_f32_e32 v6, 0x3fb8aa3b, v5
	v_fma_f32 v7, v5, s2, -v6
	v_rndne_f32_e32 v14, v6
	v_fmac_f32_e32 v7, 0x32a5705f, v5
	v_sub_f32_e32 v6, v6, v14
	v_add_f32_e32 v6, v6, v7
	v_exp_f32_e32 v6, v6
	v_cvt_i32_f32_e32 v7, v14
	v_cmp_ngt_f32_e64 s[0:1], s3, v5
	v_sub_f32_e32 v8, v8, v4
	v_sub_f32_e32 v11, v11, v4
	v_ldexp_f32 v6, v6, v7
	v_sub_f32_e32 v7, v13, v4
	v_mul_f32_e32 v13, 0x3fb8aa3b, v7
	v_fma_f32 v14, v7, s2, -v13
	v_rndne_f32_e32 v20, v13
	v_fmac_f32_e32 v14, 0x32a5705f, v7
	v_sub_f32_e32 v13, v13, v20
	v_add_f32_e32 v13, v13, v14
	v_exp_f32_e32 v13, v13
	v_cvt_i32_f32_e32 v20, v20
	v_cndmask_b32_e64 v6, 0, v6, s[0:1]
	v_cmp_nlt_f32_e64 s[0:1], s4, v5
	v_sub_f32_e32 v9, v9, v4
	v_ldexp_f32 v5, v13, v20
	v_cndmask_b32_e64 v14, v21, v6, s[0:1]
	v_sub_f32_e32 v6, v10, v4
	v_mul_f32_e32 v10, 0x3fb8aa3b, v6
	v_fma_f32 v13, v6, s2, -v10
	v_rndne_f32_e32 v20, v10
	v_fmac_f32_e32 v13, 0x32a5705f, v6
	v_sub_f32_e32 v10, v10, v20
	v_add_f32_e32 v10, v10, v13
	v_exp_f32_e32 v10, v10
	v_cvt_i32_f32_e32 v20, v20
	v_cmp_ngt_f32_e64 s[0:1], s3, v7
	v_sub_f32_e32 v1, v1, v4
	s_nop 0
	v_cndmask_b32_e64 v5, 0, v5, s[0:1]
	v_cmp_nlt_f32_e64 s[0:1], s4, v7
	v_ldexp_f32 v7, v10, v20
	v_mul_f32_e32 v10, 0x3fb8aa3b, v8
	v_fma_f32 v20, v8, s2, -v10
	v_rndne_f32_e32 v22, v10
	v_fmac_f32_e32 v20, 0x32a5705f, v8
	v_sub_f32_e32 v10, v10, v22
	v_add_f32_e32 v10, v10, v20
	v_cndmask_b32_e64 v13, v21, v5, s[0:1]
	v_cmp_ngt_f32_e64 s[0:1], s3, v6
	v_exp_f32_e32 v20, v10
	v_cvt_i32_f32_e32 v22, v22
	v_cndmask_b32_e64 v7, 0, v7, s[0:1]
	v_cmp_nlt_f32_e64 s[0:1], s4, v6
	v_add_f32_e32 v5, v14, v13
	v_ldexp_f32 v6, v20, v22
	v_cndmask_b32_e64 v10, v21, v7, s[0:1]
	v_sub_f32_e32 v7, v12, v4
	v_mul_f32_e32 v12, 0x3fb8aa3b, v7
	v_fma_f32 v20, v7, s2, -v12
	v_rndne_f32_e32 v22, v12
	v_fmac_f32_e32 v20, 0x32a5705f, v7
	v_sub_f32_e32 v12, v12, v22
	v_add_f32_e32 v12, v12, v20
	v_exp_f32_e32 v12, v12
	v_cvt_i32_f32_e32 v20, v22
	v_cmp_ngt_f32_e64 s[0:1], s3, v8
	v_add_f32_e32 v5, v5, v10
	s_nop 0
	v_cndmask_b32_e64 v6, 0, v6, s[0:1]
	v_cmp_nlt_f32_e64 s[0:1], s4, v8
	s_nop 1
	v_cndmask_b32_e64 v8, v21, v6, s[0:1]
	v_ldexp_f32 v6, v12, v20
	v_mul_f32_e32 v12, 0x3fb8aa3b, v11
	v_fma_f32 v20, v11, s2, -v12
	v_rndne_f32_e32 v22, v12
	v_fmac_f32_e32 v20, 0x32a5705f, v11
	v_sub_f32_e32 v12, v12, v22
	v_add_f32_e32 v12, v12, v20
	v_exp_f32_e32 v12, v12
	v_cvt_i32_f32_e32 v20, v22
	v_cmp_ngt_f32_e64 s[0:1], s3, v7
	v_add_f32_e32 v5, v5, v8
	s_nop 0
	v_cndmask_b32_e64 v6, 0, v6, s[0:1]
	v_cmp_nlt_f32_e64 s[0:1], s4, v7
	s_nop 1
	v_cndmask_b32_e64 v7, v21, v6, s[0:1]
	v_ldexp_f32 v6, v12, v20
	v_mul_f32_e32 v12, 0x3fb8aa3b, v9
	v_fma_f32 v20, v9, s2, -v12
	v_rndne_f32_e32 v22, v12
	v_fmac_f32_e32 v20, 0x32a5705f, v9
	v_sub_f32_e32 v12, v12, v22
	v_add_f32_e32 v12, v12, v20
	v_exp_f32_e32 v12, v12
	v_cvt_i32_f32_e32 v20, v22
	v_cmp_ngt_f32_e64 s[0:1], s3, v11
	v_add_f32_e32 v5, v5, v7
	s_nop 0
	v_cndmask_b32_e64 v6, 0, v6, s[0:1]
	v_cmp_nlt_f32_e64 s[0:1], s4, v11
	s_nop 1
	v_cndmask_b32_e64 v6, v21, v6, s[0:1]
	v_add_f32_e32 v11, v5, v6
	v_ldexp_f32 v5, v12, v20
	v_mul_f32_e32 v12, 0x3fb8aa3b, v1
	v_fma_f32 v20, v1, s2, -v12
	v_rndne_f32_e32 v22, v12
	v_fmac_f32_e32 v20, 0x32a5705f, v1
	v_sub_f32_e32 v12, v12, v22
	v_add_f32_e32 v12, v12, v20
	v_exp_f32_e32 v12, v12
	v_cvt_i32_f32_e32 v20, v22
	v_cmp_ngt_f32_e64 s[0:1], s3, v9
	s_nop 1
	v_cndmask_b32_e64 v5, 0, v5, s[0:1]
	v_cmp_nlt_f32_e64 s[0:1], s4, v9
	s_nop 1
	v_cndmask_b32_e64 v5, v21, v5, s[0:1]
	v_add_f32_e32 v9, v11, v5
	v_ldexp_f32 v11, v12, v20
	v_cmp_ngt_f32_e64 s[0:1], s3, v1
	s_nop 1
	v_cndmask_b32_e64 v11, 0, v11, s[0:1]
	v_cmp_nlt_f32_e64 s[0:1], s4, v1
	s_nop 1
	v_cndmask_b32_e64 v1, v21, v11, s[0:1]
	v_add_f32_e32 v9, v9, v1
	ds_bpermute_b32 v11, v15, v9
	v_cmp_gt_i32_e64 s[0:1], s10, v0
	s_and_b64 s[0:1], vcc, s[0:1]
	s_waitcnt lgkmcnt(0)
	v_add_f32_e32 v9, v9, v11
	ds_bpermute_b32 v11, v16, v9
	s_waitcnt lgkmcnt(0)
	v_add_f32_e32 v9, v9, v11
	ds_bpermute_b32 v11, v17, v9
	s_waitcnt lgkmcnt(0)
	v_add_f32_e32 v9, v9, v11
	ds_bpermute_b32 v11, v18, v9
	s_waitcnt lgkmcnt(0)
	v_add_f32_e32 v9, v9, v11
	ds_bpermute_b32 v11, v19, v9
	s_and_saveexec_b64 s[2:3], s[0:1]
	s_cbranch_execz .LBB19_31
; %bb.13:
	s_mov_b32 s0, 0xc61c4000
	v_cmp_neq_f32_e64 s[0:1], s0, v4
	s_waitcnt lgkmcnt(0)
	v_add_f32_e32 v4, v9, v11
	v_mov_b32_e32 v9, 0
	v_mov_b32_e32 v11, 0
	s_and_saveexec_b64 s[2:3], s[0:1]
	s_cbranch_execz .LBB19_15
; %bb.14:
	v_div_scale_f32 v11, s[4:5], v4, v4, v14
	v_rcp_f32_e32 v12, v11
	v_div_scale_f32 v15, vcc, v14, v4, v14
	v_fma_f32 v16, -v11, v12, 1.0
	v_fmac_f32_e32 v12, v16, v12
	v_mul_f32_e32 v16, v15, v12
	v_fma_f32 v17, -v11, v16, v15
	v_fmac_f32_e32 v16, v17, v12
	v_fma_f32 v11, -v11, v16, v15
	v_div_fmas_f32 v11, v11, v12, v16
	v_div_fixup_f32 v11, v11, v4, v14
	v_cvt_pk_bf16_f32 v11, v11, s0
.LBB19_15:
	s_or_b64 exec, exec, s[2:3]
	s_and_saveexec_b64 s[2:3], s[0:1]
	s_cbranch_execz .LBB19_17
; %bb.16:
	v_div_scale_f32 v9, s[4:5], v4, v4, v13
	v_rcp_f32_e32 v12, v9
	v_div_scale_f32 v14, vcc, v13, v4, v13
	v_fma_f32 v15, -v9, v12, 1.0
	v_fmac_f32_e32 v12, v15, v12
	v_mul_f32_e32 v15, v14, v12
	v_fma_f32 v16, -v9, v15, v14
	v_fmac_f32_e32 v15, v16, v12
	v_fma_f32 v9, -v9, v15, v14
	v_div_fmas_f32 v9, v9, v12, v15
	v_div_fixup_f32 v9, v9, v4, v13
	v_cvt_pk_bf16_f32 v9, v9, s0
.LBB19_17:
	s_or_b64 exec, exec, s[2:3]
	v_mov_b32_e32 v12, 0
	v_mov_b32_e32 v13, 0
	s_and_saveexec_b64 s[2:3], s[0:1]
	s_cbranch_execz .LBB19_19
; %bb.18:
	v_div_scale_f32 v13, s[4:5], v4, v4, v10
	v_rcp_f32_e32 v14, v13
	v_div_scale_f32 v15, vcc, v10, v4, v10
	v_fma_f32 v16, -v13, v14, 1.0
	v_fmac_f32_e32 v14, v16, v14
	v_mul_f32_e32 v16, v15, v14
	v_fma_f32 v17, -v13, v16, v15
	v_fmac_f32_e32 v16, v17, v14
	v_fma_f32 v13, -v13, v16, v15
	v_div_fmas_f32 v13, v13, v14, v16
	v_div_fixup_f32 v10, v13, v4, v10
	v_cvt_pk_bf16_f32 v13, v10, s0
.LBB19_19:
	s_or_b64 exec, exec, s[2:3]
	s_and_saveexec_b64 s[2:3], s[0:1]
	s_cbranch_execz .LBB19_21
; %bb.20:
	v_div_scale_f32 v10, s[4:5], v4, v4, v8
	v_rcp_f32_e32 v12, v10
	v_div_scale_f32 v14, vcc, v8, v4, v8
	v_fma_f32 v15, -v10, v12, 1.0
	v_fmac_f32_e32 v12, v15, v12
	v_mul_f32_e32 v15, v14, v12
	v_fma_f32 v16, -v10, v15, v14
	v_fmac_f32_e32 v15, v16, v12
	v_fma_f32 v10, -v10, v15, v14
	v_div_fmas_f32 v10, v10, v12, v15
	v_div_fixup_f32 v8, v10, v4, v8
	v_cvt_pk_bf16_f32 v12, v8, s0
.LBB19_21:
	s_or_b64 exec, exec, s[2:3]
	v_mov_b32_e32 v14, s12
	v_mov_b32_e32 v15, s13
	s_mov_b32 s2, 0x5040100
	v_add_u32_e32 v0, 0x80, v0
	v_lshl_add_u64 v[2:3], v[2:3], 1, v[14:15]
	v_perm_b32 v13, v12, v13, s2
	v_perm_b32 v12, v9, v11, s2
	v_cmp_gt_u32_e32 vcc, s10, v0
	global_store_dwordx2 v[2:3], v[12:13], off
	s_and_b64 exec, exec, vcc
	s_cbranch_execz .LBB19_31
; %bb.22:
	v_mov_b32_e32 v0, 0
	v_mov_b32_e32 v8, 0
	s_and_saveexec_b64 s[2:3], s[0:1]
	s_cbranch_execz .LBB19_24
; %bb.23:
	v_div_scale_f32 v8, s[4:5], v4, v4, v7
	v_rcp_f32_e32 v9, v8
	v_div_scale_f32 v10, vcc, v7, v4, v7
	v_fma_f32 v11, -v8, v9, 1.0
	v_fmac_f32_e32 v9, v11, v9
	v_mul_f32_e32 v11, v10, v9
	v_fma_f32 v12, -v8, v11, v10
	v_fmac_f32_e32 v11, v12, v9
	v_fma_f32 v8, -v8, v11, v10
	v_div_fmas_f32 v8, v8, v9, v11
	v_div_fixup_f32 v7, v8, v4, v7
	v_cvt_pk_bf16_f32 v8, v7, s0
.LBB19_24:
	s_or_b64 exec, exec, s[2:3]
	s_and_saveexec_b64 s[2:3], s[0:1]
	s_cbranch_execz .LBB19_26
; %bb.25:
	v_div_scale_f32 v0, s[4:5], v4, v4, v6
	v_rcp_f32_e32 v7, v0
	v_div_scale_f32 v9, vcc, v6, v4, v6
	v_fma_f32 v10, -v0, v7, 1.0
	v_fmac_f32_e32 v7, v10, v7
	v_mul_f32_e32 v10, v9, v7
	v_fma_f32 v11, -v0, v10, v9
	v_fmac_f32_e32 v10, v11, v7
	v_fma_f32 v0, -v0, v10, v9
	v_div_fmas_f32 v0, v0, v7, v10
	v_div_fixup_f32 v0, v0, v4, v6
	v_cvt_pk_bf16_f32 v0, v0, s0
.LBB19_26:
	s_or_b64 exec, exec, s[2:3]
	v_mov_b32_e32 v6, 0
	v_mov_b32_e32 v7, 0
	s_and_saveexec_b64 s[2:3], s[0:1]
	s_cbranch_execz .LBB19_28
; %bb.27:
	v_div_scale_f32 v7, s[4:5], v4, v4, v5
	v_rcp_f32_e32 v9, v7
	v_div_scale_f32 v10, vcc, v5, v4, v5
	v_fma_f32 v11, -v7, v9, 1.0
	v_fmac_f32_e32 v9, v11, v9
	v_mul_f32_e32 v11, v10, v9
	v_fma_f32 v12, -v7, v11, v10
	v_fmac_f32_e32 v11, v12, v9
	v_fma_f32 v7, -v7, v11, v10
	v_div_fmas_f32 v7, v7, v9, v11
	v_div_fixup_f32 v5, v7, v4, v5
	v_cvt_pk_bf16_f32 v7, v5, s0
.LBB19_28:
	s_or_b64 exec, exec, s[2:3]
	s_and_saveexec_b64 s[2:3], s[0:1]
	s_cbranch_execz .LBB19_30
; %bb.29:
	v_div_scale_f32 v5, s[0:1], v4, v4, v1
	v_rcp_f32_e32 v6, v5
	v_div_scale_f32 v9, vcc, v1, v4, v1
	v_fma_f32 v10, -v5, v6, 1.0
	v_fmac_f32_e32 v6, v10, v6
	v_mul_f32_e32 v10, v9, v6
	v_fma_f32 v11, -v5, v10, v9
	v_fmac_f32_e32 v10, v11, v6
	v_fma_f32 v5, -v5, v10, v9
	v_div_fmas_f32 v5, v5, v6, v10
	v_div_fixup_f32 v1, v5, v4, v1
	v_cvt_pk_bf16_f32 v6, v1, s0
.LBB19_30:
	s_or_b64 exec, exec, s[2:3]
	s_mov_b32 s0, 0x5040100
	v_perm_b32 v1, v6, v7, s0
	v_perm_b32 v0, v0, v8, s0
	global_store_dwordx2 v[2:3], v[0:1], off offset:256
.LBB19_31:
	s_endpgm
	.section	.rodata,"a",@progbits
	.p2align	6, 0x0
	.amdhsa_kernel _Z34scaled_masked_softmax_warp_forwardI14__hip_bfloat16S0_fLi8EEvPT0_PKT_PKhT1_iii
		.amdhsa_group_segment_fixed_size 0
		.amdhsa_private_segment_fixed_size 0
		.amdhsa_kernarg_size 296
		.amdhsa_user_sgpr_count 2
		.amdhsa_user_sgpr_dispatch_ptr 0
		.amdhsa_user_sgpr_queue_ptr 0
		.amdhsa_user_sgpr_kernarg_segment_ptr 1
		.amdhsa_user_sgpr_dispatch_id 0
		.amdhsa_user_sgpr_kernarg_preload_length 0
		.amdhsa_user_sgpr_kernarg_preload_offset 0
		.amdhsa_user_sgpr_private_segment_size 0
		.amdhsa_uses_dynamic_stack 0
		.amdhsa_enable_private_segment 0
		.amdhsa_system_sgpr_workgroup_id_x 1
		.amdhsa_system_sgpr_workgroup_id_y 1
		.amdhsa_system_sgpr_workgroup_id_z 1
		.amdhsa_system_sgpr_workgroup_info 0
		.amdhsa_system_vgpr_workitem_id 1
		.amdhsa_next_free_vgpr 23
		.amdhsa_next_free_sgpr 19
		.amdhsa_accum_offset 24
		.amdhsa_reserve_vcc 1
		.amdhsa_float_round_mode_32 0
		.amdhsa_float_round_mode_16_64 0
		.amdhsa_float_denorm_mode_32 3
		.amdhsa_float_denorm_mode_16_64 3
		.amdhsa_dx10_clamp 1
		.amdhsa_ieee_mode 1
		.amdhsa_fp16_overflow 0
		.amdhsa_tg_split 0
		.amdhsa_exception_fp_ieee_invalid_op 0
		.amdhsa_exception_fp_denorm_src 0
		.amdhsa_exception_fp_ieee_div_zero 0
		.amdhsa_exception_fp_ieee_overflow 0
		.amdhsa_exception_fp_ieee_underflow 0
		.amdhsa_exception_fp_ieee_inexact 0
		.amdhsa_exception_int_div_zero 0
	.end_amdhsa_kernel
	.section	.text._Z34scaled_masked_softmax_warp_forwardI14__hip_bfloat16S0_fLi8EEvPT0_PKT_PKhT1_iii,"axG",@progbits,_Z34scaled_masked_softmax_warp_forwardI14__hip_bfloat16S0_fLi8EEvPT0_PKT_PKhT1_iii,comdat
.Lfunc_end19:
	.size	_Z34scaled_masked_softmax_warp_forwardI14__hip_bfloat16S0_fLi8EEvPT0_PKT_PKhT1_iii, .Lfunc_end19-_Z34scaled_masked_softmax_warp_forwardI14__hip_bfloat16S0_fLi8EEvPT0_PKT_PKhT1_iii
                                        ; -- End function
	.set _Z34scaled_masked_softmax_warp_forwardI14__hip_bfloat16S0_fLi8EEvPT0_PKT_PKhT1_iii.num_vgpr, 23
	.set _Z34scaled_masked_softmax_warp_forwardI14__hip_bfloat16S0_fLi8EEvPT0_PKT_PKhT1_iii.num_agpr, 0
	.set _Z34scaled_masked_softmax_warp_forwardI14__hip_bfloat16S0_fLi8EEvPT0_PKT_PKhT1_iii.numbered_sgpr, 19
	.set _Z34scaled_masked_softmax_warp_forwardI14__hip_bfloat16S0_fLi8EEvPT0_PKT_PKhT1_iii.num_named_barrier, 0
	.set _Z34scaled_masked_softmax_warp_forwardI14__hip_bfloat16S0_fLi8EEvPT0_PKT_PKhT1_iii.private_seg_size, 0
	.set _Z34scaled_masked_softmax_warp_forwardI14__hip_bfloat16S0_fLi8EEvPT0_PKT_PKhT1_iii.uses_vcc, 1
	.set _Z34scaled_masked_softmax_warp_forwardI14__hip_bfloat16S0_fLi8EEvPT0_PKT_PKhT1_iii.uses_flat_scratch, 0
	.set _Z34scaled_masked_softmax_warp_forwardI14__hip_bfloat16S0_fLi8EEvPT0_PKT_PKhT1_iii.has_dyn_sized_stack, 0
	.set _Z34scaled_masked_softmax_warp_forwardI14__hip_bfloat16S0_fLi8EEvPT0_PKT_PKhT1_iii.has_recursion, 0
	.set _Z34scaled_masked_softmax_warp_forwardI14__hip_bfloat16S0_fLi8EEvPT0_PKT_PKhT1_iii.has_indirect_call, 0
	.section	.AMDGPU.csdata,"",@progbits
; Kernel info:
; codeLenInByte = 2944
; TotalNumSgprs: 25
; NumVgprs: 23
; NumAgprs: 0
; TotalNumVgprs: 23
; ScratchSize: 0
; MemoryBound: 0
; FloatMode: 240
; IeeeMode: 1
; LDSByteSize: 0 bytes/workgroup (compile time only)
; SGPRBlocks: 3
; VGPRBlocks: 2
; NumSGPRsForWavesPerEU: 25
; NumVGPRsForWavesPerEU: 23
; AccumOffset: 24
; Occupancy: 8
; WaveLimiterHint : 0
; COMPUTE_PGM_RSRC2:SCRATCH_EN: 0
; COMPUTE_PGM_RSRC2:USER_SGPR: 2
; COMPUTE_PGM_RSRC2:TRAP_HANDLER: 0
; COMPUTE_PGM_RSRC2:TGID_X_EN: 1
; COMPUTE_PGM_RSRC2:TGID_Y_EN: 1
; COMPUTE_PGM_RSRC2:TGID_Z_EN: 1
; COMPUTE_PGM_RSRC2:TIDIG_COMP_CNT: 1
; COMPUTE_PGM_RSRC3_GFX90A:ACCUM_OFFSET: 5
; COMPUTE_PGM_RSRC3_GFX90A:TG_SPLIT: 0
	.section	.text._Z34scaled_masked_softmax_warp_forwardI14__hip_bfloat16S0_fLi9EEvPT0_PKT_PKhT1_iii,"axG",@progbits,_Z34scaled_masked_softmax_warp_forwardI14__hip_bfloat16S0_fLi9EEvPT0_PKT_PKhT1_iii,comdat
	.protected	_Z34scaled_masked_softmax_warp_forwardI14__hip_bfloat16S0_fLi9EEvPT0_PKT_PKhT1_iii ; -- Begin function _Z34scaled_masked_softmax_warp_forwardI14__hip_bfloat16S0_fLi9EEvPT0_PKT_PKhT1_iii
	.globl	_Z34scaled_masked_softmax_warp_forwardI14__hip_bfloat16S0_fLi9EEvPT0_PKT_PKhT1_iii
	.p2align	8
	.type	_Z34scaled_masked_softmax_warp_forwardI14__hip_bfloat16S0_fLi9EEvPT0_PKT_PKhT1_iii,@function
_Z34scaled_masked_softmax_warp_forwardI14__hip_bfloat16S0_fLi9EEvPT0_PKT_PKhT1_iii: ; @_Z34scaled_masked_softmax_warp_forwardI14__hip_bfloat16S0_fLi9EEvPT0_PKT_PKhT1_iii
; %bb.0:
	s_load_dword s5, s[0:1], 0x34
	s_load_dwordx4 s[8:11], s[0:1], 0x18
	s_load_dwordx2 s[16:17], s[0:1], 0x28
	s_waitcnt lgkmcnt(0)
	s_lshr_b32 s18, s5, 16
	s_cmp_eq_u32 s11, 1
	s_mov_b32 s5, s2
	s_cbranch_scc1 .LBB20_2
; %bb.1:
	s_mul_i32 s5, s16, s4
	s_add_i32 s5, s5, s2
.LBB20_2:
	s_load_dwordx4 s[12:15], s[0:1], 0x0
	s_load_dwordx2 s[6:7], s[0:1], 0x10
	s_mul_i32 s1, s17, s4
	s_add_i32 s1, s1, s3
	s_mul_i32 s1, s16, s1
	s_and_b32 s0, 0xffff, s18
	s_add_i32 s1, s1, s2
	s_mul_i32 s1, s1, s0
	v_bfe_u32 v4, v0, 10, 10
	v_lshlrev_b32_e32 v0, 2, v0
	v_add_u32_e32 v1, s1, v4
	v_and_b32_e32 v0, 0xffc, v0
	v_mad_u64_u32 v[2:3], s[2:3], v1, s10, v[0:1]
	v_ashrrev_i32_e32 v3, 31, v2
	v_cmp_gt_i32_e32 vcc, s9, v1
                                        ; implicit-def: $vgpr22
                                        ; implicit-def: $vgpr21
                                        ; implicit-def: $vgpr12
                                        ; implicit-def: $vgpr10
                                        ; implicit-def: $vgpr18
                                        ; implicit-def: $vgpr15
                                        ; implicit-def: $vgpr11
                                        ; implicit-def: $vgpr9
                                        ; implicit-def: $vgpr20
                                        ; implicit-def: $vgpr19
                                        ; implicit-def: $vgpr14
                                        ; implicit-def: $vgpr8
                                        ; implicit-def: $vgpr17
                                        ; implicit-def: $vgpr16
                                        ; implicit-def: $vgpr13
                                        ; implicit-def: $vgpr1
	s_and_saveexec_b64 s[2:3], vcc
	s_cbranch_execz .LBB20_20
; %bb.3:
	s_mul_i32 s0, s5, s0
	s_waitcnt lgkmcnt(0)
	v_mov_b32_e32 v6, s14
	v_mov_b32_e32 v7, s15
	v_add_u32_e32 v1, s0, v4
	v_lshl_add_u64 v[4:5], v[2:3], 1, v[6:7]
	v_mad_u64_u32 v[6:7], s[0:1], v1, s10, v[0:1]
	v_ashrrev_i32_e32 v7, 31, v6
	v_lshl_add_u64 v[6:7], s[6:7], 0, v[6:7]
	v_cmp_gt_i32_e64 s[0:1], s10, v0
	v_mov_b32_e32 v22, 0xff800000
	v_mov_b32_e32 v21, 0xff800000
	;; [unrolled: 1-line block ×4, first 2 shown]
	s_and_saveexec_b64 s[4:5], s[0:1]
	s_cbranch_execz .LBB20_7
; %bb.4:
	global_load_dword v1, v[6:7], off
	global_load_dword v11, v[4:5], off offset:2
	global_load_ushort v8, v[4:5], off offset:6
	v_mov_b32_e32 v9, 1
	s_movk_i32 s6, 0xff
	v_mov_b32_e32 v10, 0xc61c4000
	v_mov_b32_e32 v22, 0xc61c4000
	s_waitcnt vmcnt(2)
	v_lshrrev_b32_e32 v12, 8, v1
	v_cmp_ne_u16_sdwa s[14:15], v1, v9 src0_sel:BYTE_0 src1_sel:DWORD
	s_and_saveexec_b64 s[0:1], s[14:15]
	s_cbranch_execz .LBB20_6
; %bb.5:
	global_load_ushort v13, v[4:5], off
	s_waitcnt vmcnt(0)
	v_lshlrev_b32_e32 v13, 16, v13
	v_mul_f32_e32 v22, s8, v13
.LBB20_6:
	s_or_b64 exec, exec, s[0:1]
	s_waitcnt vmcnt(1)
	v_lshlrev_b32_e32 v14, 16, v11
	v_and_b32_sdwa v13, v1, s6 dst_sel:DWORD dst_unused:UNUSED_PAD src0_sel:WORD_1 src1_sel:DWORD
	v_mul_f32_e32 v14, s8, v14
	v_cmp_ne_u16_sdwa s[0:1], v12, v9 src0_sel:BYTE_0 src1_sel:DWORD
	v_and_b32_e32 v11, 0xffff0000, v11
	v_mul_f32_e32 v11, s8, v11
	v_cndmask_b32_e64 v21, v10, v14, s[0:1]
	v_cmp_ne_u16_e64 s[0:1], 1, v13
	s_waitcnt vmcnt(0)
	v_lshlrev_b32_e32 v8, 16, v8
	v_mul_f32_e32 v8, s8, v8
	v_cndmask_b32_e64 v12, v10, v11, s[0:1]
	v_cmp_ne_u16_sdwa s[0:1], v1, v9 src0_sel:BYTE_3 src1_sel:DWORD
	s_nop 1
	v_cndmask_b32_e64 v10, v10, v8, s[0:1]
.LBB20_7:
	s_or_b64 exec, exec, s[4:5]
	v_add_u32_e32 v1, 0x80, v0
	v_cmp_gt_i32_e64 s[0:1], s10, v1
	v_mov_b32_e32 v18, 0xff800000
	v_mov_b32_e32 v15, 0xff800000
	;; [unrolled: 1-line block ×4, first 2 shown]
	s_and_saveexec_b64 s[4:5], s[0:1]
	s_cbranch_execz .LBB20_11
; %bb.8:
	global_load_dword v1, v[6:7], off offset:128
	global_load_dword v11, v[4:5], off offset:258
	global_load_ushort v8, v[4:5], off offset:262
	v_mov_b32_e32 v9, 1
	s_movk_i32 s6, 0xff
	v_mov_b32_e32 v13, 0xc61c4000
	v_mov_b32_e32 v18, 0xc61c4000
	s_waitcnt vmcnt(2)
	v_lshrrev_b32_e32 v14, 8, v1
	v_cmp_ne_u16_sdwa s[14:15], v1, v9 src0_sel:BYTE_0 src1_sel:DWORD
	s_and_saveexec_b64 s[0:1], s[14:15]
	s_cbranch_execz .LBB20_10
; %bb.9:
	global_load_ushort v15, v[4:5], off offset:256
	s_waitcnt vmcnt(0)
	v_lshlrev_b32_e32 v15, 16, v15
	v_mul_f32_e32 v18, s8, v15
.LBB20_10:
	s_or_b64 exec, exec, s[0:1]
	s_waitcnt vmcnt(1)
	v_lshlrev_b32_e32 v15, 16, v11
	v_and_b32_sdwa v16, v1, s6 dst_sel:DWORD dst_unused:UNUSED_PAD src0_sel:WORD_1 src1_sel:DWORD
	v_mul_f32_e32 v15, s8, v15
	v_cmp_ne_u16_sdwa s[0:1], v14, v9 src0_sel:BYTE_0 src1_sel:DWORD
	v_and_b32_e32 v11, 0xffff0000, v11
	v_mul_f32_e32 v11, s8, v11
	v_cndmask_b32_e64 v15, v13, v15, s[0:1]
	v_cmp_ne_u16_e64 s[0:1], 1, v16
	s_waitcnt vmcnt(0)
	v_lshlrev_b32_e32 v8, 16, v8
	v_mul_f32_e32 v8, s8, v8
	v_cndmask_b32_e64 v11, v13, v11, s[0:1]
	v_cmp_ne_u16_sdwa s[0:1], v1, v9 src0_sel:BYTE_3 src1_sel:DWORD
	s_nop 1
	v_cndmask_b32_e64 v9, v13, v8, s[0:1]
.LBB20_11:
	s_or_b64 exec, exec, s[4:5]
	v_add_u32_e32 v1, 0x100, v0
	v_cmp_gt_i32_e64 s[0:1], s10, v1
	v_mov_b32_e32 v20, 0xff800000
	v_mov_b32_e32 v19, 0xff800000
	;; [unrolled: 1-line block ×4, first 2 shown]
	s_and_saveexec_b64 s[4:5], s[0:1]
	s_cbranch_execz .LBB20_15
; %bb.12:
	global_load_dword v1, v[6:7], off offset:256
	global_load_dword v14, v[4:5], off offset:514
	global_load_ushort v8, v[4:5], off offset:518
	v_mov_b32_e32 v13, 1
	s_movk_i32 s6, 0xff
	v_mov_b32_e32 v16, 0xc61c4000
	v_mov_b32_e32 v20, 0xc61c4000
	s_waitcnt vmcnt(2)
	v_lshrrev_b32_e32 v17, 8, v1
	v_cmp_ne_u16_sdwa s[14:15], v1, v13 src0_sel:BYTE_0 src1_sel:DWORD
	s_and_saveexec_b64 s[0:1], s[14:15]
	s_cbranch_execz .LBB20_14
; %bb.13:
	global_load_ushort v19, v[4:5], off offset:512
	s_waitcnt vmcnt(0)
	v_lshlrev_b32_e32 v19, 16, v19
	v_mul_f32_e32 v20, s8, v19
.LBB20_14:
	s_or_b64 exec, exec, s[0:1]
	s_waitcnt vmcnt(1)
	v_lshlrev_b32_e32 v19, 16, v14
	v_and_b32_sdwa v23, v1, s6 dst_sel:DWORD dst_unused:UNUSED_PAD src0_sel:WORD_1 src1_sel:DWORD
	v_mul_f32_e32 v19, s8, v19
	v_cmp_ne_u16_sdwa s[0:1], v17, v13 src0_sel:BYTE_0 src1_sel:DWORD
	v_and_b32_e32 v14, 0xffff0000, v14
	v_mul_f32_e32 v14, s8, v14
	v_cndmask_b32_e64 v19, v16, v19, s[0:1]
	v_cmp_ne_u16_e64 s[0:1], 1, v23
	s_waitcnt vmcnt(0)
	v_lshlrev_b32_e32 v8, 16, v8
	v_mul_f32_e32 v8, s8, v8
	v_cndmask_b32_e64 v14, v16, v14, s[0:1]
	v_cmp_ne_u16_sdwa s[0:1], v1, v13 src0_sel:BYTE_3 src1_sel:DWORD
	s_nop 1
	v_cndmask_b32_e64 v8, v16, v8, s[0:1]
.LBB20_15:
	s_or_b64 exec, exec, s[4:5]
	v_add_u32_e32 v1, 0x180, v0
	v_cmp_gt_i32_e64 s[0:1], s10, v1
	v_mov_b32_e32 v17, 0xff800000
	v_mov_b32_e32 v16, 0xff800000
	;; [unrolled: 1-line block ×4, first 2 shown]
	s_and_saveexec_b64 s[4:5], s[0:1]
	s_cbranch_execz .LBB20_19
; %bb.16:
	global_load_dword v1, v[6:7], off offset:384
	global_load_dword v13, v[4:5], off offset:770
	global_load_ushort v23, v[4:5], off offset:774
	v_mov_b32_e32 v6, 1
	s_movk_i32 s6, 0xff
	v_mov_b32_e32 v7, 0xc61c4000
	v_mov_b32_e32 v17, 0xc61c4000
	s_waitcnt vmcnt(2)
	v_lshrrev_b32_e32 v16, 8, v1
	v_cmp_ne_u16_sdwa s[14:15], v1, v6 src0_sel:BYTE_0 src1_sel:DWORD
	s_and_saveexec_b64 s[0:1], s[14:15]
	s_cbranch_execz .LBB20_18
; %bb.17:
	global_load_ushort v4, v[4:5], off offset:768
	s_waitcnt vmcnt(0)
	v_lshlrev_b32_e32 v4, 16, v4
	v_mul_f32_e32 v17, s8, v4
.LBB20_18:
	s_or_b64 exec, exec, s[0:1]
	s_waitcnt vmcnt(1)
	v_lshlrev_b32_e32 v5, 16, v13
	v_mul_f32_e32 v5, s8, v5
	v_cmp_ne_u16_sdwa s[0:1], v16, v6 src0_sel:BYTE_0 src1_sel:DWORD
	v_and_b32_sdwa v4, v1, s6 dst_sel:DWORD dst_unused:UNUSED_PAD src0_sel:WORD_1 src1_sel:DWORD
	s_nop 0
	v_cndmask_b32_e64 v16, v7, v5, s[0:1]
	v_and_b32_e32 v5, 0xffff0000, v13
	v_mul_f32_e32 v5, s8, v5
	v_cmp_ne_u16_e64 s[0:1], 1, v4
	s_waitcnt vmcnt(0)
	v_lshlrev_b32_e32 v4, 16, v23
	v_mul_f32_e32 v4, s8, v4
	v_cndmask_b32_e64 v13, v7, v5, s[0:1]
	v_cmp_ne_u16_sdwa s[0:1], v1, v6 src0_sel:BYTE_3 src1_sel:DWORD
	s_nop 1
	v_cndmask_b32_e64 v1, v7, v4, s[0:1]
.LBB20_19:
	s_or_b64 exec, exec, s[4:5]
.LBB20_20:
	s_or_b64 exec, exec, s[2:3]
	v_cmp_gt_f32_e64 s[0:1], v22, v21
	s_mov_b32 s3, 0x3fb8aa3b
	s_mov_b32 s2, 0xc2ce8ed0
	v_cndmask_b32_e64 v4, v21, v22, s[0:1]
	v_cmp_gt_f32_e64 s[0:1], v4, v12
	s_mov_b32 s4, 0x42b17218
	v_mov_b32_e32 v31, 0x7f800000
	v_cndmask_b32_e64 v4, v12, v4, s[0:1]
	v_cmp_gt_f32_e64 s[0:1], v4, v10
	s_nop 1
	v_cndmask_b32_e64 v4, v10, v4, s[0:1]
	v_cmp_gt_f32_e64 s[0:1], v4, v18
	s_nop 1
	;; [unrolled: 3-line block ×13, first 2 shown]
	v_cndmask_b32_e64 v5, v1, v4, s[0:1]
	v_mbcnt_lo_u32_b32 v4, -1, 0
	v_mbcnt_hi_u32_b32 v6, -1, v4
	v_and_b32_e32 v4, 0x60, v6
	v_add_u32_e32 v7, 32, v4
	v_xor_b32_e32 v4, 16, v6
	v_cmp_lt_i32_e64 s[0:1], v4, v7
	s_nop 1
	v_cndmask_b32_e64 v4, v6, v4, s[0:1]
	v_lshlrev_b32_e32 v4, 2, v4
	ds_bpermute_b32 v23, v4, v5
	s_waitcnt lgkmcnt(0)
	v_cmp_lt_f32_e64 s[0:1], v5, v23
	s_nop 1
	v_cndmask_b32_e64 v5, v5, v23, s[0:1]
	v_xor_b32_e32 v23, 8, v6
	v_cmp_lt_i32_e64 s[0:1], v23, v7
	s_nop 1
	v_cndmask_b32_e64 v23, v6, v23, s[0:1]
	v_lshlrev_b32_e32 v24, 2, v23
	ds_bpermute_b32 v23, v24, v5
	s_waitcnt lgkmcnt(0)
	v_cmp_lt_f32_e64 s[0:1], v5, v23
	s_nop 1
	v_cndmask_b32_e64 v5, v5, v23, s[0:1]
	;; [unrolled: 10-line block ×5, first 2 shown]
	v_sub_f32_e32 v5, v22, v27
	v_mul_f32_e32 v6, 0x3fb8aa3b, v5
	v_fma_f32 v7, v5, s3, -v6
	v_rndne_f32_e32 v22, v6
	v_fmac_f32_e32 v7, 0x32a5705f, v5
	v_sub_f32_e32 v6, v6, v22
	v_add_f32_e32 v6, v6, v7
	v_exp_f32_e32 v6, v6
	v_cvt_i32_f32_e32 v7, v22
	v_cmp_ngt_f32_e64 s[0:1], s2, v5
	v_sub_f32_e32 v10, v10, v27
	v_sub_f32_e32 v9, v9, v27
	v_ldexp_f32 v6, v6, v7
	v_sub_f32_e32 v7, v21, v27
	v_mul_f32_e32 v21, 0x3fb8aa3b, v7
	v_fma_f32 v22, v7, s3, -v21
	v_rndne_f32_e32 v23, v21
	v_fmac_f32_e32 v22, 0x32a5705f, v7
	v_sub_f32_e32 v21, v21, v23
	v_add_f32_e32 v21, v21, v22
	v_exp_f32_e32 v21, v21
	v_cvt_i32_f32_e32 v22, v23
	v_cndmask_b32_e64 v6, 0, v6, s[0:1]
	v_cmp_nlt_f32_e64 s[0:1], s4, v5
	v_sub_f32_e32 v8, v8, v27
	v_ldexp_f32 v5, v21, v22
	v_cndmask_b32_e64 v29, v31, v6, s[0:1]
	v_sub_f32_e32 v6, v12, v27
	v_mul_f32_e32 v12, 0x3fb8aa3b, v6
	v_fma_f32 v21, v6, s3, -v12
	v_rndne_f32_e32 v22, v12
	v_fmac_f32_e32 v21, 0x32a5705f, v6
	v_sub_f32_e32 v12, v12, v22
	v_add_f32_e32 v12, v12, v21
	v_exp_f32_e32 v12, v12
	v_cvt_i32_f32_e32 v21, v22
	v_cmp_ngt_f32_e64 s[0:1], s2, v7
	v_sub_f32_e32 v13, v13, v27
	v_sub_f32_e32 v1, v1, v27
	v_cndmask_b32_e64 v5, 0, v5, s[0:1]
	v_cmp_nlt_f32_e64 s[0:1], s4, v7
	v_ldexp_f32 v7, v12, v21
	v_mul_f32_e32 v12, 0x3fb8aa3b, v10
	v_fma_f32 v21, v10, s3, -v12
	v_rndne_f32_e32 v22, v12
	v_fmac_f32_e32 v21, 0x32a5705f, v10
	v_sub_f32_e32 v12, v12, v22
	v_add_f32_e32 v12, v12, v21
	v_exp_f32_e32 v12, v12
	v_cvt_i32_f32_e32 v21, v22
	v_cndmask_b32_e64 v25, v31, v5, s[0:1]
	v_cmp_ngt_f32_e64 s[0:1], s2, v6
	v_add_f32_e32 v5, v29, v25
	s_nop 0
	v_cndmask_b32_e64 v7, 0, v7, s[0:1]
	v_cmp_nlt_f32_e64 s[0:1], s4, v6
	v_ldexp_f32 v6, v12, v21
	s_nop 0
	v_cndmask_b32_e64 v23, v31, v7, s[0:1]
	v_sub_f32_e32 v7, v18, v27
	v_mul_f32_e32 v12, 0x3fb8aa3b, v7
	v_fma_f32 v18, v7, s3, -v12
	v_rndne_f32_e32 v21, v12
	v_fmac_f32_e32 v18, 0x32a5705f, v7
	v_sub_f32_e32 v12, v12, v21
	v_add_f32_e32 v12, v12, v18
	v_exp_f32_e32 v12, v12
	v_cvt_i32_f32_e32 v18, v21
	v_cmp_ngt_f32_e64 s[0:1], s2, v10
	v_add_f32_e32 v5, v5, v23
	s_nop 0
	v_cndmask_b32_e64 v6, 0, v6, s[0:1]
	v_cmp_nlt_f32_e64 s[0:1], s4, v10
	v_sub_f32_e32 v10, v15, v27
	s_nop 0
	v_cndmask_b32_e64 v22, v31, v6, s[0:1]
	v_ldexp_f32 v6, v12, v18
	v_mul_f32_e32 v12, 0x3fb8aa3b, v10
	v_fma_f32 v15, v10, s3, -v12
	v_rndne_f32_e32 v18, v12
	v_fmac_f32_e32 v15, 0x32a5705f, v10
	v_sub_f32_e32 v12, v12, v18
	v_add_f32_e32 v12, v12, v15
	v_exp_f32_e32 v12, v12
	v_cvt_i32_f32_e32 v15, v18
	v_cmp_ngt_f32_e64 s[0:1], s2, v7
	v_add_f32_e32 v5, v5, v22
	s_nop 0
	v_cndmask_b32_e64 v6, 0, v6, s[0:1]
	v_cmp_nlt_f32_e64 s[0:1], s4, v7
	v_sub_f32_e32 v7, v11, v27
	v_mul_f32_e32 v11, 0x3fb8aa3b, v7
	v_cndmask_b32_e64 v21, v31, v6, s[0:1]
	v_ldexp_f32 v6, v12, v15
	v_fma_f32 v12, v7, s3, -v11
	v_rndne_f32_e32 v15, v11
	v_fmac_f32_e32 v12, 0x32a5705f, v7
	v_sub_f32_e32 v11, v11, v15
	v_add_f32_e32 v11, v11, v12
	v_exp_f32_e32 v11, v11
	v_cvt_i32_f32_e32 v12, v15
	v_cmp_ngt_f32_e64 s[0:1], s2, v10
	v_add_f32_e32 v5, v5, v21
	s_nop 0
	v_cndmask_b32_e64 v6, 0, v6, s[0:1]
	v_cmp_nlt_f32_e64 s[0:1], s4, v10
	v_mul_f32_e32 v10, 0x3fb8aa3b, v9
	s_nop 0
	v_cndmask_b32_e64 v18, v31, v6, s[0:1]
	v_ldexp_f32 v6, v11, v12
	v_fma_f32 v11, v9, s3, -v10
	v_rndne_f32_e32 v12, v10
	v_fmac_f32_e32 v11, 0x32a5705f, v9
	v_sub_f32_e32 v10, v10, v12
	v_add_f32_e32 v10, v10, v11
	v_exp_f32_e32 v10, v10
	v_cvt_i32_f32_e32 v11, v12
	v_cmp_ngt_f32_e64 s[0:1], s2, v7
	v_add_f32_e32 v5, v5, v18
	s_nop 0
	v_cndmask_b32_e64 v6, 0, v6, s[0:1]
	v_cmp_nlt_f32_e64 s[0:1], s4, v7
	v_sub_f32_e32 v7, v20, v27
	s_nop 0
	v_cndmask_b32_e64 v15, v31, v6, s[0:1]
	v_ldexp_f32 v6, v10, v11
	v_mul_f32_e32 v10, 0x3fb8aa3b, v7
	v_fma_f32 v11, v7, s3, -v10
	v_rndne_f32_e32 v12, v10
	v_fmac_f32_e32 v11, 0x32a5705f, v7
	v_sub_f32_e32 v10, v10, v12
	v_add_f32_e32 v10, v10, v11
	v_exp_f32_e32 v10, v10
	v_cvt_i32_f32_e32 v11, v12
	v_cmp_ngt_f32_e64 s[0:1], s2, v9
	v_add_f32_e32 v5, v5, v15
	s_nop 0
	v_cndmask_b32_e64 v6, 0, v6, s[0:1]
	v_cmp_nlt_f32_e64 s[0:1], s4, v9
	v_sub_f32_e32 v9, v19, v27
	s_nop 0
	v_cndmask_b32_e64 v12, v31, v6, s[0:1]
	v_ldexp_f32 v6, v10, v11
	v_mul_f32_e32 v10, 0x3fb8aa3b, v9
	;; [unrolled: 17-line block ×3, first 2 shown]
	v_fma_f32 v14, v7, s3, -v10
	v_rndne_f32_e32 v19, v10
	v_fmac_f32_e32 v14, 0x32a5705f, v7
	v_sub_f32_e32 v10, v10, v19
	v_add_f32_e32 v10, v10, v14
	v_exp_f32_e32 v14, v10
	v_cvt_i32_f32_e32 v19, v19
	v_cmp_ngt_f32_e64 s[0:1], s2, v9
	v_add_f32_e32 v5, v5, v11
	s_nop 0
	v_cndmask_b32_e64 v6, 0, v6, s[0:1]
	v_cmp_nlt_f32_e64 s[0:1], s4, v9
	v_mul_f32_e32 v9, 0x3fb8aa3b, v8
	s_nop 0
	v_cndmask_b32_e64 v10, v31, v6, s[0:1]
	v_ldexp_f32 v6, v14, v19
	v_fma_f32 v14, v8, s3, -v9
	v_rndne_f32_e32 v19, v9
	v_fmac_f32_e32 v14, 0x32a5705f, v8
	v_sub_f32_e32 v9, v9, v19
	v_add_f32_e32 v9, v9, v14
	v_exp_f32_e32 v14, v9
	v_cvt_i32_f32_e32 v19, v19
	v_cmp_ngt_f32_e64 s[0:1], s2, v7
	v_add_f32_e32 v5, v5, v10
	s_nop 0
	v_cndmask_b32_e64 v6, 0, v6, s[0:1]
	v_cmp_nlt_f32_e64 s[0:1], s4, v7
	v_sub_f32_e32 v7, v17, v27
	s_nop 0
	v_cndmask_b32_e64 v9, v31, v6, s[0:1]
	v_ldexp_f32 v6, v14, v19
	v_mul_f32_e32 v14, 0x3fb8aa3b, v7
	v_fma_f32 v17, v7, s3, -v14
	v_rndne_f32_e32 v19, v14
	v_fmac_f32_e32 v17, 0x32a5705f, v7
	v_sub_f32_e32 v14, v14, v19
	v_add_f32_e32 v14, v14, v17
	v_exp_f32_e32 v14, v14
	v_cvt_i32_f32_e32 v17, v19
	v_cmp_ngt_f32_e64 s[0:1], s2, v8
	v_add_f32_e32 v5, v5, v9
	s_nop 0
	v_cndmask_b32_e64 v6, 0, v6, s[0:1]
	v_cmp_nlt_f32_e64 s[0:1], s4, v8
	s_nop 1
	v_cndmask_b32_e64 v8, v31, v6, s[0:1]
	v_ldexp_f32 v6, v14, v17
	v_sub_f32_e32 v14, v16, v27
	v_mul_f32_e32 v16, 0x3fb8aa3b, v14
	v_fma_f32 v17, v14, s3, -v16
	v_rndne_f32_e32 v19, v16
	v_fmac_f32_e32 v17, 0x32a5705f, v14
	v_sub_f32_e32 v16, v16, v19
	v_add_f32_e32 v16, v16, v17
	v_exp_f32_e32 v16, v16
	v_cvt_i32_f32_e32 v17, v19
	v_cmp_ngt_f32_e64 s[0:1], s2, v7
	v_add_f32_e32 v5, v5, v8
	s_nop 0
	v_cndmask_b32_e64 v6, 0, v6, s[0:1]
	v_cmp_nlt_f32_e64 s[0:1], s4, v7
	s_nop 1
	v_cndmask_b32_e64 v7, v31, v6, s[0:1]
	v_ldexp_f32 v6, v16, v17
	v_mul_f32_e32 v16, 0x3fb8aa3b, v13
	v_fma_f32 v17, v13, s3, -v16
	v_rndne_f32_e32 v19, v16
	v_fmac_f32_e32 v17, 0x32a5705f, v13
	v_sub_f32_e32 v16, v16, v19
	v_add_f32_e32 v16, v16, v17
	v_exp_f32_e32 v16, v16
	v_cvt_i32_f32_e32 v17, v19
	v_cmp_ngt_f32_e64 s[0:1], s2, v14
	v_add_f32_e32 v5, v5, v7
	s_nop 0
	v_cndmask_b32_e64 v6, 0, v6, s[0:1]
	v_cmp_nlt_f32_e64 s[0:1], s4, v14
	s_nop 1
	v_cndmask_b32_e64 v6, v31, v6, s[0:1]
	v_add_f32_e32 v14, v5, v6
	v_ldexp_f32 v5, v16, v17
	v_mul_f32_e32 v16, 0x3fb8aa3b, v1
	v_fma_f32 v17, v1, s3, -v16
	v_rndne_f32_e32 v19, v16
	v_fmac_f32_e32 v17, 0x32a5705f, v1
	v_sub_f32_e32 v16, v16, v19
	v_add_f32_e32 v16, v16, v17
	v_exp_f32_e32 v16, v16
	v_cvt_i32_f32_e32 v17, v19
	v_cmp_ngt_f32_e64 s[0:1], s2, v13
	s_nop 1
	v_cndmask_b32_e64 v5, 0, v5, s[0:1]
	v_cmp_nlt_f32_e64 s[0:1], s4, v13
	s_nop 1
	v_cndmask_b32_e64 v5, v31, v5, s[0:1]
	v_add_f32_e32 v13, v14, v5
	v_ldexp_f32 v14, v16, v17
	v_cmp_ngt_f32_e64 s[0:1], s2, v1
	s_nop 1
	v_cndmask_b32_e64 v14, 0, v14, s[0:1]
	v_cmp_nlt_f32_e64 s[0:1], s4, v1
	s_nop 1
	v_cndmask_b32_e64 v1, v31, v14, s[0:1]
	v_add_f32_e32 v13, v13, v1
	ds_bpermute_b32 v4, v4, v13
	v_cmp_gt_i32_e64 s[0:1], s10, v0
	s_and_b64 s[0:1], vcc, s[0:1]
	s_waitcnt lgkmcnt(0)
	v_add_f32_e32 v4, v13, v4
	ds_bpermute_b32 v13, v24, v4
	s_waitcnt lgkmcnt(0)
	v_add_f32_e32 v4, v4, v13
	ds_bpermute_b32 v13, v26, v4
	s_waitcnt lgkmcnt(0)
	v_add_f32_e32 v4, v4, v13
	ds_bpermute_b32 v13, v28, v4
	s_waitcnt lgkmcnt(0)
	v_add_f32_e32 v4, v4, v13
	ds_bpermute_b32 v13, v30, v4
	s_and_saveexec_b64 s[2:3], s[0:1]
	s_cbranch_execz .LBB20_57
; %bb.21:
	s_mov_b32 s0, 0xc61c4000
	v_cmp_neq_f32_e64 s[0:1], s0, v27
	s_waitcnt lgkmcnt(0)
	v_add_f32_e32 v4, v4, v13
	v_mov_b32_e32 v13, 0
	v_mov_b32_e32 v14, 0
	s_and_saveexec_b64 s[2:3], s[0:1]
	s_cbranch_execz .LBB20_23
; %bb.22:
	v_div_scale_f32 v14, s[4:5], v4, v4, v29
	v_rcp_f32_e32 v16, v14
	v_div_scale_f32 v17, vcc, v29, v4, v29
	v_fma_f32 v19, -v14, v16, 1.0
	v_fmac_f32_e32 v16, v19, v16
	v_mul_f32_e32 v19, v17, v16
	v_fma_f32 v20, -v14, v19, v17
	v_fmac_f32_e32 v19, v20, v16
	v_fma_f32 v14, -v14, v19, v17
	v_div_fmas_f32 v14, v14, v16, v19
	v_div_fixup_f32 v14, v14, v4, v29
	v_cvt_pk_bf16_f32 v14, v14, s0
.LBB20_23:
	s_or_b64 exec, exec, s[2:3]
	s_and_saveexec_b64 s[2:3], s[0:1]
	s_cbranch_execz .LBB20_25
; %bb.24:
	v_div_scale_f32 v13, s[4:5], v4, v4, v25
	v_rcp_f32_e32 v16, v13
	v_div_scale_f32 v17, vcc, v25, v4, v25
	v_fma_f32 v19, -v13, v16, 1.0
	v_fmac_f32_e32 v16, v19, v16
	v_mul_f32_e32 v19, v17, v16
	v_fma_f32 v20, -v13, v19, v17
	v_fmac_f32_e32 v19, v20, v16
	v_fma_f32 v13, -v13, v19, v17
	v_div_fmas_f32 v13, v13, v16, v19
	v_div_fixup_f32 v13, v13, v4, v25
	v_cvt_pk_bf16_f32 v13, v13, s0
.LBB20_25:
	s_or_b64 exec, exec, s[2:3]
	v_mov_b32_e32 v16, 0
	v_mov_b32_e32 v17, 0
	s_and_saveexec_b64 s[2:3], s[0:1]
	s_cbranch_execz .LBB20_27
; %bb.26:
	v_div_scale_f32 v17, s[4:5], v4, v4, v23
	v_rcp_f32_e32 v19, v17
	v_div_scale_f32 v20, vcc, v23, v4, v23
	v_fma_f32 v24, -v17, v19, 1.0
	v_fmac_f32_e32 v19, v24, v19
	v_mul_f32_e32 v24, v20, v19
	v_fma_f32 v25, -v17, v24, v20
	v_fmac_f32_e32 v24, v25, v19
	v_fma_f32 v17, -v17, v24, v20
	v_div_fmas_f32 v17, v17, v19, v24
	v_div_fixup_f32 v17, v17, v4, v23
	v_cvt_pk_bf16_f32 v17, v17, s0
.LBB20_27:
	s_or_b64 exec, exec, s[2:3]
	s_and_saveexec_b64 s[2:3], s[0:1]
	s_cbranch_execz .LBB20_29
; %bb.28:
	v_div_scale_f32 v16, s[4:5], v4, v4, v22
	v_rcp_f32_e32 v19, v16
	v_div_scale_f32 v20, vcc, v22, v4, v22
	v_fma_f32 v23, -v16, v19, 1.0
	v_fmac_f32_e32 v19, v23, v19
	v_mul_f32_e32 v23, v20, v19
	v_fma_f32 v24, -v16, v23, v20
	v_fmac_f32_e32 v23, v24, v19
	v_fma_f32 v16, -v16, v23, v20
	v_div_fmas_f32 v16, v16, v19, v23
	v_div_fixup_f32 v16, v16, v4, v22
	v_cvt_pk_bf16_f32 v16, v16, s0
.LBB20_29:
	s_or_b64 exec, exec, s[2:3]
	s_mov_b32 s2, 0x5040100
	v_mov_b32_e32 v22, s12
	v_mov_b32_e32 v23, s13
	v_perm_b32 v17, v16, v17, s2
	v_perm_b32 v16, v13, v14, s2
	v_add_u32_e32 v13, 0x80, v0
	v_lshl_add_u64 v[2:3], v[2:3], 1, v[22:23]
	v_cmp_gt_u32_e32 vcc, s10, v13
	global_store_dwordx2 v[2:3], v[16:17], off
	s_and_b64 exec, exec, vcc
	s_cbranch_execz .LBB20_57
; %bb.30:
	v_mov_b32_e32 v13, 0
	v_mov_b32_e32 v14, 0
	s_and_saveexec_b64 s[2:3], s[0:1]
	s_cbranch_execz .LBB20_32
; %bb.31:
	v_div_scale_f32 v14, s[4:5], v4, v4, v21
	v_rcp_f32_e32 v16, v14
	v_div_scale_f32 v17, vcc, v21, v4, v21
	v_fma_f32 v19, -v14, v16, 1.0
	v_fmac_f32_e32 v16, v19, v16
	v_mul_f32_e32 v19, v17, v16
	v_fma_f32 v20, -v14, v19, v17
	v_fmac_f32_e32 v19, v20, v16
	v_fma_f32 v14, -v14, v19, v17
	v_div_fmas_f32 v14, v14, v16, v19
	v_div_fixup_f32 v14, v14, v4, v21
	v_cvt_pk_bf16_f32 v14, v14, s0
.LBB20_32:
	s_or_b64 exec, exec, s[2:3]
	s_and_saveexec_b64 s[2:3], s[0:1]
	s_cbranch_execz .LBB20_34
; %bb.33:
	v_div_scale_f32 v13, s[4:5], v4, v4, v18
	v_rcp_f32_e32 v16, v13
	v_div_scale_f32 v17, vcc, v18, v4, v18
	v_fma_f32 v19, -v13, v16, 1.0
	v_fmac_f32_e32 v16, v19, v16
	v_mul_f32_e32 v19, v17, v16
	v_fma_f32 v20, -v13, v19, v17
	v_fmac_f32_e32 v19, v20, v16
	v_fma_f32 v13, -v13, v19, v17
	v_div_fmas_f32 v13, v13, v16, v19
	v_div_fixup_f32 v13, v13, v4, v18
	v_cvt_pk_bf16_f32 v13, v13, s0
.LBB20_34:
	s_or_b64 exec, exec, s[2:3]
	v_mov_b32_e32 v16, 0
	v_mov_b32_e32 v17, 0
	s_and_saveexec_b64 s[2:3], s[0:1]
	s_cbranch_execz .LBB20_36
; %bb.35:
	v_div_scale_f32 v17, s[4:5], v4, v4, v15
	v_rcp_f32_e32 v18, v17
	v_div_scale_f32 v19, vcc, v15, v4, v15
	v_fma_f32 v20, -v17, v18, 1.0
	v_fmac_f32_e32 v18, v20, v18
	v_mul_f32_e32 v20, v19, v18
	v_fma_f32 v21, -v17, v20, v19
	v_fmac_f32_e32 v20, v21, v18
	v_fma_f32 v17, -v17, v20, v19
	v_div_fmas_f32 v17, v17, v18, v20
	v_div_fixup_f32 v15, v17, v4, v15
	v_cvt_pk_bf16_f32 v17, v15, s0
.LBB20_36:
	s_or_b64 exec, exec, s[2:3]
	s_and_saveexec_b64 s[2:3], s[0:1]
	s_cbranch_execz .LBB20_38
; %bb.37:
	v_div_scale_f32 v15, s[4:5], v4, v4, v12
	v_rcp_f32_e32 v16, v15
	v_div_scale_f32 v18, vcc, v12, v4, v12
	v_fma_f32 v19, -v15, v16, 1.0
	v_fmac_f32_e32 v16, v19, v16
	v_mul_f32_e32 v19, v18, v16
	v_fma_f32 v20, -v15, v19, v18
	v_fmac_f32_e32 v19, v20, v16
	v_fma_f32 v15, -v15, v19, v18
	v_div_fmas_f32 v15, v15, v16, v19
	v_div_fixup_f32 v12, v15, v4, v12
	v_cvt_pk_bf16_f32 v16, v12, s0
.LBB20_38:
	s_or_b64 exec, exec, s[2:3]
	s_mov_b32 s2, 0x5040100
	v_add_u32_e32 v12, 0x100, v0
	v_perm_b32 v15, v16, v17, s2
	v_perm_b32 v14, v13, v14, s2
	v_cmp_gt_u32_e32 vcc, s10, v12
	global_store_dwordx2 v[2:3], v[14:15], off offset:256
	s_and_b64 exec, exec, vcc
	s_cbranch_execz .LBB20_57
; %bb.39:
	v_mov_b32_e32 v12, 0
	v_mov_b32_e32 v13, 0
	s_and_saveexec_b64 s[2:3], s[0:1]
	s_cbranch_execz .LBB20_41
; %bb.40:
	v_div_scale_f32 v13, s[4:5], v4, v4, v11
	v_rcp_f32_e32 v14, v13
	v_div_scale_f32 v15, vcc, v11, v4, v11
	v_fma_f32 v16, -v13, v14, 1.0
	v_fmac_f32_e32 v14, v16, v14
	v_mul_f32_e32 v16, v15, v14
	v_fma_f32 v17, -v13, v16, v15
	v_fmac_f32_e32 v16, v17, v14
	v_fma_f32 v13, -v13, v16, v15
	v_div_fmas_f32 v13, v13, v14, v16
	v_div_fixup_f32 v11, v13, v4, v11
	v_cvt_pk_bf16_f32 v13, v11, s0
.LBB20_41:
	s_or_b64 exec, exec, s[2:3]
	s_and_saveexec_b64 s[2:3], s[0:1]
	s_cbranch_execz .LBB20_43
; %bb.42:
	v_div_scale_f32 v11, s[4:5], v4, v4, v10
	v_rcp_f32_e32 v12, v11
	v_div_scale_f32 v14, vcc, v10, v4, v10
	v_fma_f32 v15, -v11, v12, 1.0
	v_fmac_f32_e32 v12, v15, v12
	v_mul_f32_e32 v15, v14, v12
	v_fma_f32 v16, -v11, v15, v14
	v_fmac_f32_e32 v15, v16, v12
	v_fma_f32 v11, -v11, v15, v14
	v_div_fmas_f32 v11, v11, v12, v15
	v_div_fixup_f32 v10, v11, v4, v10
	v_cvt_pk_bf16_f32 v12, v10, s0
.LBB20_43:
	s_or_b64 exec, exec, s[2:3]
	v_mov_b32_e32 v10, 0
	v_mov_b32_e32 v11, 0
	s_and_saveexec_b64 s[2:3], s[0:1]
	s_cbranch_execz .LBB20_45
; %bb.44:
	v_div_scale_f32 v11, s[4:5], v4, v4, v9
	v_rcp_f32_e32 v14, v11
	v_div_scale_f32 v15, vcc, v9, v4, v9
	v_fma_f32 v16, -v11, v14, 1.0
	v_fmac_f32_e32 v14, v16, v14
	v_mul_f32_e32 v16, v15, v14
	v_fma_f32 v17, -v11, v16, v15
	v_fmac_f32_e32 v16, v17, v14
	v_fma_f32 v11, -v11, v16, v15
	v_div_fmas_f32 v11, v11, v14, v16
	v_div_fixup_f32 v9, v11, v4, v9
	v_cvt_pk_bf16_f32 v11, v9, s0
.LBB20_45:
	s_or_b64 exec, exec, s[2:3]
	s_and_saveexec_b64 s[2:3], s[0:1]
	s_cbranch_execz .LBB20_47
; %bb.46:
	v_div_scale_f32 v9, s[4:5], v4, v4, v8
	v_rcp_f32_e32 v10, v9
	v_div_scale_f32 v14, vcc, v8, v4, v8
	v_fma_f32 v15, -v9, v10, 1.0
	v_fmac_f32_e32 v10, v15, v10
	v_mul_f32_e32 v15, v14, v10
	v_fma_f32 v16, -v9, v15, v14
	v_fmac_f32_e32 v15, v16, v10
	v_fma_f32 v9, -v9, v15, v14
	v_div_fmas_f32 v9, v9, v10, v15
	v_div_fixup_f32 v8, v9, v4, v8
	v_cvt_pk_bf16_f32 v10, v8, s0
.LBB20_47:
	s_or_b64 exec, exec, s[2:3]
	s_mov_b32 s2, 0x5040100
	v_add_u32_e32 v0, 0x180, v0
	v_perm_b32 v9, v10, v11, s2
	v_perm_b32 v8, v12, v13, s2
	v_cmp_gt_u32_e32 vcc, s10, v0
	global_store_dwordx2 v[2:3], v[8:9], off offset:512
	s_and_b64 exec, exec, vcc
	s_cbranch_execz .LBB20_57
; %bb.48:
	v_mov_b32_e32 v0, 0
	v_mov_b32_e32 v8, 0
	s_and_saveexec_b64 s[2:3], s[0:1]
	s_cbranch_execz .LBB20_50
; %bb.49:
	v_div_scale_f32 v8, s[4:5], v4, v4, v7
	v_rcp_f32_e32 v9, v8
	v_div_scale_f32 v10, vcc, v7, v4, v7
	v_fma_f32 v11, -v8, v9, 1.0
	v_fmac_f32_e32 v9, v11, v9
	v_mul_f32_e32 v11, v10, v9
	v_fma_f32 v12, -v8, v11, v10
	v_fmac_f32_e32 v11, v12, v9
	v_fma_f32 v8, -v8, v11, v10
	v_div_fmas_f32 v8, v8, v9, v11
	v_div_fixup_f32 v7, v8, v4, v7
	v_cvt_pk_bf16_f32 v8, v7, s0
.LBB20_50:
	s_or_b64 exec, exec, s[2:3]
	s_and_saveexec_b64 s[2:3], s[0:1]
	s_cbranch_execz .LBB20_52
; %bb.51:
	v_div_scale_f32 v0, s[4:5], v4, v4, v6
	v_rcp_f32_e32 v7, v0
	v_div_scale_f32 v9, vcc, v6, v4, v6
	v_fma_f32 v10, -v0, v7, 1.0
	v_fmac_f32_e32 v7, v10, v7
	v_mul_f32_e32 v10, v9, v7
	v_fma_f32 v11, -v0, v10, v9
	v_fmac_f32_e32 v10, v11, v7
	v_fma_f32 v0, -v0, v10, v9
	v_div_fmas_f32 v0, v0, v7, v10
	v_div_fixup_f32 v0, v0, v4, v6
	v_cvt_pk_bf16_f32 v0, v0, s0
.LBB20_52:
	s_or_b64 exec, exec, s[2:3]
	v_mov_b32_e32 v6, 0
	v_mov_b32_e32 v7, 0
	s_and_saveexec_b64 s[2:3], s[0:1]
	s_cbranch_execz .LBB20_54
; %bb.53:
	v_div_scale_f32 v7, s[4:5], v4, v4, v5
	v_rcp_f32_e32 v9, v7
	v_div_scale_f32 v10, vcc, v5, v4, v5
	v_fma_f32 v11, -v7, v9, 1.0
	v_fmac_f32_e32 v9, v11, v9
	v_mul_f32_e32 v11, v10, v9
	v_fma_f32 v12, -v7, v11, v10
	v_fmac_f32_e32 v11, v12, v9
	v_fma_f32 v7, -v7, v11, v10
	v_div_fmas_f32 v7, v7, v9, v11
	v_div_fixup_f32 v5, v7, v4, v5
	v_cvt_pk_bf16_f32 v7, v5, s0
.LBB20_54:
	s_or_b64 exec, exec, s[2:3]
	s_and_saveexec_b64 s[2:3], s[0:1]
	s_cbranch_execz .LBB20_56
; %bb.55:
	v_div_scale_f32 v5, s[0:1], v4, v4, v1
	v_rcp_f32_e32 v6, v5
	v_div_scale_f32 v9, vcc, v1, v4, v1
	v_fma_f32 v10, -v5, v6, 1.0
	v_fmac_f32_e32 v6, v10, v6
	v_mul_f32_e32 v10, v9, v6
	v_fma_f32 v11, -v5, v10, v9
	v_fmac_f32_e32 v10, v11, v6
	v_fma_f32 v5, -v5, v10, v9
	v_div_fmas_f32 v5, v5, v6, v10
	v_div_fixup_f32 v1, v5, v4, v1
	v_cvt_pk_bf16_f32 v6, v1, s0
.LBB20_56:
	s_or_b64 exec, exec, s[2:3]
	s_mov_b32 s0, 0x5040100
	v_perm_b32 v1, v6, v7, s0
	v_perm_b32 v0, v0, v8, s0
	global_store_dwordx2 v[2:3], v[0:1], off offset:768
.LBB20_57:
	s_endpgm
	.section	.rodata,"a",@progbits
	.p2align	6, 0x0
	.amdhsa_kernel _Z34scaled_masked_softmax_warp_forwardI14__hip_bfloat16S0_fLi9EEvPT0_PKT_PKhT1_iii
		.amdhsa_group_segment_fixed_size 0
		.amdhsa_private_segment_fixed_size 0
		.amdhsa_kernarg_size 296
		.amdhsa_user_sgpr_count 2
		.amdhsa_user_sgpr_dispatch_ptr 0
		.amdhsa_user_sgpr_queue_ptr 0
		.amdhsa_user_sgpr_kernarg_segment_ptr 1
		.amdhsa_user_sgpr_dispatch_id 0
		.amdhsa_user_sgpr_kernarg_preload_length 0
		.amdhsa_user_sgpr_kernarg_preload_offset 0
		.amdhsa_user_sgpr_private_segment_size 0
		.amdhsa_uses_dynamic_stack 0
		.amdhsa_enable_private_segment 0
		.amdhsa_system_sgpr_workgroup_id_x 1
		.amdhsa_system_sgpr_workgroup_id_y 1
		.amdhsa_system_sgpr_workgroup_id_z 1
		.amdhsa_system_sgpr_workgroup_info 0
		.amdhsa_system_vgpr_workitem_id 1
		.amdhsa_next_free_vgpr 32
		.amdhsa_next_free_sgpr 19
		.amdhsa_accum_offset 32
		.amdhsa_reserve_vcc 1
		.amdhsa_float_round_mode_32 0
		.amdhsa_float_round_mode_16_64 0
		.amdhsa_float_denorm_mode_32 3
		.amdhsa_float_denorm_mode_16_64 3
		.amdhsa_dx10_clamp 1
		.amdhsa_ieee_mode 1
		.amdhsa_fp16_overflow 0
		.amdhsa_tg_split 0
		.amdhsa_exception_fp_ieee_invalid_op 0
		.amdhsa_exception_fp_denorm_src 0
		.amdhsa_exception_fp_ieee_div_zero 0
		.amdhsa_exception_fp_ieee_overflow 0
		.amdhsa_exception_fp_ieee_underflow 0
		.amdhsa_exception_fp_ieee_inexact 0
		.amdhsa_exception_int_div_zero 0
	.end_amdhsa_kernel
	.section	.text._Z34scaled_masked_softmax_warp_forwardI14__hip_bfloat16S0_fLi9EEvPT0_PKT_PKhT1_iii,"axG",@progbits,_Z34scaled_masked_softmax_warp_forwardI14__hip_bfloat16S0_fLi9EEvPT0_PKT_PKhT1_iii,comdat
.Lfunc_end20:
	.size	_Z34scaled_masked_softmax_warp_forwardI14__hip_bfloat16S0_fLi9EEvPT0_PKT_PKhT1_iii, .Lfunc_end20-_Z34scaled_masked_softmax_warp_forwardI14__hip_bfloat16S0_fLi9EEvPT0_PKT_PKhT1_iii
                                        ; -- End function
	.set _Z34scaled_masked_softmax_warp_forwardI14__hip_bfloat16S0_fLi9EEvPT0_PKT_PKhT1_iii.num_vgpr, 32
	.set _Z34scaled_masked_softmax_warp_forwardI14__hip_bfloat16S0_fLi9EEvPT0_PKT_PKhT1_iii.num_agpr, 0
	.set _Z34scaled_masked_softmax_warp_forwardI14__hip_bfloat16S0_fLi9EEvPT0_PKT_PKhT1_iii.numbered_sgpr, 19
	.set _Z34scaled_masked_softmax_warp_forwardI14__hip_bfloat16S0_fLi9EEvPT0_PKT_PKhT1_iii.num_named_barrier, 0
	.set _Z34scaled_masked_softmax_warp_forwardI14__hip_bfloat16S0_fLi9EEvPT0_PKT_PKhT1_iii.private_seg_size, 0
	.set _Z34scaled_masked_softmax_warp_forwardI14__hip_bfloat16S0_fLi9EEvPT0_PKT_PKhT1_iii.uses_vcc, 1
	.set _Z34scaled_masked_softmax_warp_forwardI14__hip_bfloat16S0_fLi9EEvPT0_PKT_PKhT1_iii.uses_flat_scratch, 0
	.set _Z34scaled_masked_softmax_warp_forwardI14__hip_bfloat16S0_fLi9EEvPT0_PKT_PKhT1_iii.has_dyn_sized_stack, 0
	.set _Z34scaled_masked_softmax_warp_forwardI14__hip_bfloat16S0_fLi9EEvPT0_PKT_PKhT1_iii.has_recursion, 0
	.set _Z34scaled_masked_softmax_warp_forwardI14__hip_bfloat16S0_fLi9EEvPT0_PKT_PKhT1_iii.has_indirect_call, 0
	.section	.AMDGPU.csdata,"",@progbits
; Kernel info:
; codeLenInByte = 5288
; TotalNumSgprs: 25
; NumVgprs: 32
; NumAgprs: 0
; TotalNumVgprs: 32
; ScratchSize: 0
; MemoryBound: 0
; FloatMode: 240
; IeeeMode: 1
; LDSByteSize: 0 bytes/workgroup (compile time only)
; SGPRBlocks: 3
; VGPRBlocks: 3
; NumSGPRsForWavesPerEU: 25
; NumVGPRsForWavesPerEU: 32
; AccumOffset: 32
; Occupancy: 8
; WaveLimiterHint : 0
; COMPUTE_PGM_RSRC2:SCRATCH_EN: 0
; COMPUTE_PGM_RSRC2:USER_SGPR: 2
; COMPUTE_PGM_RSRC2:TRAP_HANDLER: 0
; COMPUTE_PGM_RSRC2:TGID_X_EN: 1
; COMPUTE_PGM_RSRC2:TGID_Y_EN: 1
; COMPUTE_PGM_RSRC2:TGID_Z_EN: 1
; COMPUTE_PGM_RSRC2:TIDIG_COMP_CNT: 1
; COMPUTE_PGM_RSRC3_GFX90A:ACCUM_OFFSET: 7
; COMPUTE_PGM_RSRC3_GFX90A:TG_SPLIT: 0
	.section	.text._Z34scaled_masked_softmax_warp_forwardI14__hip_bfloat16S0_fLi10EEvPT0_PKT_PKhT1_iii,"axG",@progbits,_Z34scaled_masked_softmax_warp_forwardI14__hip_bfloat16S0_fLi10EEvPT0_PKT_PKhT1_iii,comdat
	.protected	_Z34scaled_masked_softmax_warp_forwardI14__hip_bfloat16S0_fLi10EEvPT0_PKT_PKhT1_iii ; -- Begin function _Z34scaled_masked_softmax_warp_forwardI14__hip_bfloat16S0_fLi10EEvPT0_PKT_PKhT1_iii
	.globl	_Z34scaled_masked_softmax_warp_forwardI14__hip_bfloat16S0_fLi10EEvPT0_PKT_PKhT1_iii
	.p2align	8
	.type	_Z34scaled_masked_softmax_warp_forwardI14__hip_bfloat16S0_fLi10EEvPT0_PKT_PKhT1_iii,@function
_Z34scaled_masked_softmax_warp_forwardI14__hip_bfloat16S0_fLi10EEvPT0_PKT_PKhT1_iii: ; @_Z34scaled_masked_softmax_warp_forwardI14__hip_bfloat16S0_fLi10EEvPT0_PKT_PKhT1_iii
; %bb.0:
	s_load_dword s5, s[0:1], 0x34
	s_load_dwordx4 s[8:11], s[0:1], 0x18
	s_load_dwordx2 s[16:17], s[0:1], 0x28
	s_waitcnt lgkmcnt(0)
	s_lshr_b32 s18, s5, 16
	s_cmp_eq_u32 s11, 1
	s_mov_b32 s5, s2
	s_cbranch_scc1 .LBB21_2
; %bb.1:
	s_mul_i32 s5, s16, s4
	s_add_i32 s5, s5, s2
.LBB21_2:
	s_load_dwordx4 s[12:15], s[0:1], 0x0
	s_load_dwordx2 s[6:7], s[0:1], 0x10
	s_mul_i32 s1, s17, s4
	s_add_i32 s1, s1, s3
	s_mul_i32 s1, s16, s1
	s_and_b32 s0, 0xffff, s18
	s_add_i32 s1, s1, s2
	s_mul_i32 s1, s1, s0
	v_bfe_u32 v4, v0, 10, 10
	v_lshlrev_b32_e32 v0, 2, v0
	v_add_u32_e32 v1, s1, v4
	v_and_b32_e32 v0, 0xffc, v0
	v_mad_u64_u32 v[2:3], s[2:3], v1, s10, v[0:1]
	v_ashrrev_i32_e32 v3, 31, v2
	v_cmp_gt_i32_e32 vcc, s9, v1
                                        ; implicit-def: $vgpr38
                                        ; implicit-def: $vgpr37
                                        ; implicit-def: $vgpr26
                                        ; implicit-def: $vgpr17
                                        ; implicit-def: $vgpr36
                                        ; implicit-def: $vgpr35
                                        ; implicit-def: $vgpr21
                                        ; implicit-def: $vgpr15
                                        ; implicit-def: $vgpr34
                                        ; implicit-def: $vgpr29
                                        ; implicit-def: $vgpr18
                                        ; implicit-def: $vgpr13
                                        ; implicit-def: $vgpr23
                                        ; implicit-def: $vgpr22
                                        ; implicit-def: $vgpr16
                                        ; implicit-def: $vgpr11
                                        ; implicit-def: $vgpr20
                                        ; implicit-def: $vgpr19
                                        ; implicit-def: $vgpr14
                                        ; implicit-def: $vgpr10
                                        ; implicit-def: $vgpr33
                                        ; implicit-def: $vgpr32
                                        ; implicit-def: $vgpr12
                                        ; implicit-def: $vgpr9
                                        ; implicit-def: $vgpr31
                                        ; implicit-def: $vgpr30
                                        ; implicit-def: $vgpr25
                                        ; implicit-def: $vgpr8
                                        ; implicit-def: $vgpr28
                                        ; implicit-def: $vgpr27
                                        ; implicit-def: $vgpr24
                                        ; implicit-def: $vgpr1
	s_and_saveexec_b64 s[2:3], vcc
	s_cbranch_execz .LBB21_36
; %bb.3:
	s_mul_i32 s0, s5, s0
	s_waitcnt lgkmcnt(0)
	v_mov_b32_e32 v6, s14
	v_mov_b32_e32 v7, s15
	v_add_u32_e32 v1, s0, v4
	v_lshl_add_u64 v[4:5], v[2:3], 1, v[6:7]
	v_mad_u64_u32 v[6:7], s[0:1], v1, s10, v[0:1]
	v_ashrrev_i32_e32 v7, 31, v6
	v_lshl_add_u64 v[6:7], s[6:7], 0, v[6:7]
	v_cmp_gt_i32_e64 s[0:1], s10, v0
	v_mov_b32_e32 v38, 0xff800000
	v_mov_b32_e32 v37, 0xff800000
	;; [unrolled: 1-line block ×4, first 2 shown]
	s_and_saveexec_b64 s[4:5], s[0:1]
	s_cbranch_execz .LBB21_7
; %bb.4:
	global_load_dword v1, v[6:7], off
	global_load_dword v11, v[4:5], off offset:2
	global_load_ushort v8, v[4:5], off offset:6
	v_mov_b32_e32 v9, 1
	s_movk_i32 s6, 0xff
	v_mov_b32_e32 v10, 0xc61c4000
	v_mov_b32_e32 v38, 0xc61c4000
	s_waitcnt vmcnt(2)
	v_lshrrev_b32_e32 v12, 8, v1
	v_cmp_ne_u16_sdwa s[14:15], v1, v9 src0_sel:BYTE_0 src1_sel:DWORD
	s_and_saveexec_b64 s[0:1], s[14:15]
	s_cbranch_execz .LBB21_6
; %bb.5:
	global_load_ushort v13, v[4:5], off
	s_waitcnt vmcnt(0)
	v_lshlrev_b32_e32 v13, 16, v13
	v_mul_f32_e32 v38, s8, v13
.LBB21_6:
	s_or_b64 exec, exec, s[0:1]
	s_waitcnt vmcnt(1)
	v_lshlrev_b32_e32 v14, 16, v11
	v_and_b32_sdwa v13, v1, s6 dst_sel:DWORD dst_unused:UNUSED_PAD src0_sel:WORD_1 src1_sel:DWORD
	v_mul_f32_e32 v14, s8, v14
	v_cmp_ne_u16_sdwa s[0:1], v12, v9 src0_sel:BYTE_0 src1_sel:DWORD
	v_and_b32_e32 v11, 0xffff0000, v11
	v_mul_f32_e32 v11, s8, v11
	v_cndmask_b32_e64 v37, v10, v14, s[0:1]
	v_cmp_ne_u16_e64 s[0:1], 1, v13
	s_waitcnt vmcnt(0)
	v_lshlrev_b32_e32 v8, 16, v8
	v_mul_f32_e32 v8, s8, v8
	v_cndmask_b32_e64 v26, v10, v11, s[0:1]
	v_cmp_ne_u16_sdwa s[0:1], v1, v9 src0_sel:BYTE_3 src1_sel:DWORD
	s_nop 1
	v_cndmask_b32_e64 v17, v10, v8, s[0:1]
.LBB21_7:
	s_or_b64 exec, exec, s[4:5]
	v_add_u32_e32 v1, 0x80, v0
	v_cmp_gt_i32_e64 s[0:1], s10, v1
	v_mov_b32_e32 v36, 0xff800000
	v_mov_b32_e32 v35, 0xff800000
	v_mov_b32_e32 v21, 0xff800000
	v_mov_b32_e32 v15, 0xff800000
	s_and_saveexec_b64 s[4:5], s[0:1]
	s_cbranch_execz .LBB21_11
; %bb.8:
	global_load_dword v1, v[6:7], off offset:128
	global_load_dword v11, v[4:5], off offset:258
	global_load_ushort v8, v[4:5], off offset:262
	v_mov_b32_e32 v9, 1
	s_movk_i32 s6, 0xff
	v_mov_b32_e32 v10, 0xc61c4000
	v_mov_b32_e32 v36, 0xc61c4000
	s_waitcnt vmcnt(2)
	v_lshrrev_b32_e32 v12, 8, v1
	v_cmp_ne_u16_sdwa s[14:15], v1, v9 src0_sel:BYTE_0 src1_sel:DWORD
	s_and_saveexec_b64 s[0:1], s[14:15]
	s_cbranch_execz .LBB21_10
; %bb.9:
	global_load_ushort v13, v[4:5], off offset:256
	s_waitcnt vmcnt(0)
	v_lshlrev_b32_e32 v13, 16, v13
	v_mul_f32_e32 v36, s8, v13
.LBB21_10:
	s_or_b64 exec, exec, s[0:1]
	s_waitcnt vmcnt(1)
	v_lshlrev_b32_e32 v14, 16, v11
	v_and_b32_sdwa v13, v1, s6 dst_sel:DWORD dst_unused:UNUSED_PAD src0_sel:WORD_1 src1_sel:DWORD
	v_mul_f32_e32 v14, s8, v14
	v_cmp_ne_u16_sdwa s[0:1], v12, v9 src0_sel:BYTE_0 src1_sel:DWORD
	v_and_b32_e32 v11, 0xffff0000, v11
	v_mul_f32_e32 v11, s8, v11
	v_cndmask_b32_e64 v35, v10, v14, s[0:1]
	v_cmp_ne_u16_e64 s[0:1], 1, v13
	s_waitcnt vmcnt(0)
	v_lshlrev_b32_e32 v8, 16, v8
	v_mul_f32_e32 v8, s8, v8
	v_cndmask_b32_e64 v21, v10, v11, s[0:1]
	v_cmp_ne_u16_sdwa s[0:1], v1, v9 src0_sel:BYTE_3 src1_sel:DWORD
	s_nop 1
	v_cndmask_b32_e64 v15, v10, v8, s[0:1]
.LBB21_11:
	s_or_b64 exec, exec, s[4:5]
	v_add_u32_e32 v1, 0x100, v0
	v_cmp_gt_i32_e64 s[0:1], s10, v1
	v_mov_b32_e32 v34, 0xff800000
	v_mov_b32_e32 v29, 0xff800000
	v_mov_b32_e32 v18, 0xff800000
	v_mov_b32_e32 v13, 0xff800000
	s_and_saveexec_b64 s[4:5], s[0:1]
	s_cbranch_execz .LBB21_15
; %bb.12:
	global_load_dword v1, v[6:7], off offset:256
	global_load_dword v11, v[4:5], off offset:514
	global_load_ushort v8, v[4:5], off offset:518
	v_mov_b32_e32 v9, 1
	s_movk_i32 s6, 0xff
	v_mov_b32_e32 v10, 0xc61c4000
	v_mov_b32_e32 v34, 0xc61c4000
	s_waitcnt vmcnt(2)
	v_lshrrev_b32_e32 v12, 8, v1
	v_cmp_ne_u16_sdwa s[14:15], v1, v9 src0_sel:BYTE_0 src1_sel:DWORD
	s_and_saveexec_b64 s[0:1], s[14:15]
	s_cbranch_execz .LBB21_14
; %bb.13:
	global_load_ushort v13, v[4:5], off offset:512
	s_waitcnt vmcnt(0)
	v_lshlrev_b32_e32 v13, 16, v13
	v_mul_f32_e32 v34, s8, v13
.LBB21_14:
	s_or_b64 exec, exec, s[0:1]
	s_waitcnt vmcnt(1)
	v_lshlrev_b32_e32 v14, 16, v11
	v_and_b32_sdwa v13, v1, s6 dst_sel:DWORD dst_unused:UNUSED_PAD src0_sel:WORD_1 src1_sel:DWORD
	v_mul_f32_e32 v14, s8, v14
	v_cmp_ne_u16_sdwa s[0:1], v12, v9 src0_sel:BYTE_0 src1_sel:DWORD
	v_and_b32_e32 v11, 0xffff0000, v11
	v_mul_f32_e32 v11, s8, v11
	v_cndmask_b32_e64 v29, v10, v14, s[0:1]
	v_cmp_ne_u16_e64 s[0:1], 1, v13
	s_waitcnt vmcnt(0)
	v_lshlrev_b32_e32 v8, 16, v8
	v_mul_f32_e32 v8, s8, v8
	v_cndmask_b32_e64 v18, v10, v11, s[0:1]
	v_cmp_ne_u16_sdwa s[0:1], v1, v9 src0_sel:BYTE_3 src1_sel:DWORD
	s_nop 1
	v_cndmask_b32_e64 v13, v10, v8, s[0:1]
.LBB21_15:
	;; [unrolled: 46-line block ×6, first 2 shown]
	s_or_b64 exec, exec, s[4:5]
	v_add_u32_e32 v1, 0x380, v0
	v_cmp_gt_i32_e64 s[0:1], s10, v1
	v_mov_b32_e32 v28, 0xff800000
	v_mov_b32_e32 v27, 0xff800000
	;; [unrolled: 1-line block ×4, first 2 shown]
	s_and_saveexec_b64 s[4:5], s[0:1]
	s_cbranch_execz .LBB21_35
; %bb.32:
	global_load_dword v1, v[6:7], off offset:896
	global_load_dword v24, v[4:5], off offset:1794
	global_load_ushort v39, v[4:5], off offset:1798
	v_mov_b32_e32 v6, 1
	s_movk_i32 s6, 0xff
	v_mov_b32_e32 v7, 0xc61c4000
	v_mov_b32_e32 v28, 0xc61c4000
	s_waitcnt vmcnt(2)
	v_lshrrev_b32_e32 v27, 8, v1
	v_cmp_ne_u16_sdwa s[14:15], v1, v6 src0_sel:BYTE_0 src1_sel:DWORD
	s_and_saveexec_b64 s[0:1], s[14:15]
	s_cbranch_execz .LBB21_34
; %bb.33:
	global_load_ushort v4, v[4:5], off offset:1792
	s_waitcnt vmcnt(0)
	v_lshlrev_b32_e32 v4, 16, v4
	v_mul_f32_e32 v28, s8, v4
.LBB21_34:
	s_or_b64 exec, exec, s[0:1]
	s_waitcnt vmcnt(1)
	v_lshlrev_b32_e32 v5, 16, v24
	v_mul_f32_e32 v5, s8, v5
	v_cmp_ne_u16_sdwa s[0:1], v27, v6 src0_sel:BYTE_0 src1_sel:DWORD
	v_and_b32_sdwa v4, v1, s6 dst_sel:DWORD dst_unused:UNUSED_PAD src0_sel:WORD_1 src1_sel:DWORD
	s_nop 0
	v_cndmask_b32_e64 v27, v7, v5, s[0:1]
	v_and_b32_e32 v5, 0xffff0000, v24
	v_mul_f32_e32 v5, s8, v5
	v_cmp_ne_u16_e64 s[0:1], 1, v4
	s_waitcnt vmcnt(0)
	v_lshlrev_b32_e32 v4, 16, v39
	v_mul_f32_e32 v4, s8, v4
	v_cndmask_b32_e64 v24, v7, v5, s[0:1]
	v_cmp_ne_u16_sdwa s[0:1], v1, v6 src0_sel:BYTE_3 src1_sel:DWORD
	s_nop 1
	v_cndmask_b32_e64 v1, v7, v4, s[0:1]
.LBB21_35:
	s_or_b64 exec, exec, s[4:5]
.LBB21_36:
	s_or_b64 exec, exec, s[2:3]
	v_cmp_gt_f32_e64 s[0:1], v38, v37
	s_mov_b32 s3, 0x3fb8aa3b
	s_mov_b32 s2, 0xc2ce8ed0
	v_cndmask_b32_e64 v4, v37, v38, s[0:1]
	v_cmp_gt_f32_e64 s[0:1], v4, v26
	s_mov_b32 s4, 0x42b17218
	v_mov_b32_e32 v49, 0x7f800000
	v_cndmask_b32_e64 v4, v26, v4, s[0:1]
	v_cmp_gt_f32_e64 s[0:1], v4, v17
	s_nop 1
	v_cndmask_b32_e64 v4, v17, v4, s[0:1]
	v_cmp_gt_f32_e64 s[0:1], v4, v36
	s_nop 1
	;; [unrolled: 3-line block ×29, first 2 shown]
	v_cndmask_b32_e64 v5, v1, v4, s[0:1]
	v_mbcnt_lo_u32_b32 v4, -1, 0
	v_mbcnt_hi_u32_b32 v6, -1, v4
	v_and_b32_e32 v4, 0x60, v6
	v_add_u32_e32 v7, 32, v4
	v_xor_b32_e32 v4, 16, v6
	v_cmp_lt_i32_e64 s[0:1], v4, v7
	s_nop 1
	v_cndmask_b32_e64 v4, v6, v4, s[0:1]
	v_lshlrev_b32_e32 v4, 2, v4
	ds_bpermute_b32 v39, v4, v5
	s_waitcnt lgkmcnt(0)
	v_cmp_lt_f32_e64 s[0:1], v5, v39
	s_nop 1
	v_cndmask_b32_e64 v5, v5, v39, s[0:1]
	v_xor_b32_e32 v39, 8, v6
	v_cmp_lt_i32_e64 s[0:1], v39, v7
	s_nop 1
	v_cndmask_b32_e64 v39, v6, v39, s[0:1]
	v_lshlrev_b32_e32 v42, 2, v39
	ds_bpermute_b32 v39, v42, v5
	s_waitcnt lgkmcnt(0)
	v_cmp_lt_f32_e64 s[0:1], v5, v39
	s_nop 1
	v_cndmask_b32_e64 v5, v5, v39, s[0:1]
	;; [unrolled: 10-line block ×5, first 2 shown]
	v_sub_f32_e32 v5, v38, v45
	v_mul_f32_e32 v6, 0x3fb8aa3b, v5
	v_fma_f32 v7, v5, s3, -v6
	v_rndne_f32_e32 v38, v6
	v_fmac_f32_e32 v7, 0x32a5705f, v5
	v_sub_f32_e32 v6, v6, v38
	v_add_f32_e32 v6, v6, v7
	v_exp_f32_e32 v6, v6
	v_cvt_i32_f32_e32 v7, v38
	v_cmp_ngt_f32_e64 s[0:1], s2, v5
	v_sub_f32_e32 v17, v17, v45
	v_sub_f32_e32 v15, v15, v45
	v_ldexp_f32 v6, v6, v7
	v_sub_f32_e32 v7, v37, v45
	v_mul_f32_e32 v37, 0x3fb8aa3b, v7
	v_fma_f32 v38, v7, s3, -v37
	v_rndne_f32_e32 v39, v37
	v_fmac_f32_e32 v38, 0x32a5705f, v7
	v_sub_f32_e32 v37, v37, v39
	v_add_f32_e32 v37, v37, v38
	v_exp_f32_e32 v37, v37
	v_cvt_i32_f32_e32 v38, v39
	v_cndmask_b32_e64 v6, 0, v6, s[0:1]
	v_cmp_nlt_f32_e64 s[0:1], s4, v5
	v_sub_f32_e32 v13, v13, v45
	v_ldexp_f32 v5, v37, v38
	v_cndmask_b32_e64 v47, v49, v6, s[0:1]
	v_sub_f32_e32 v6, v26, v45
	v_mul_f32_e32 v26, 0x3fb8aa3b, v6
	v_fma_f32 v37, v6, s3, -v26
	v_rndne_f32_e32 v38, v26
	v_fmac_f32_e32 v37, 0x32a5705f, v6
	v_sub_f32_e32 v26, v26, v38
	v_add_f32_e32 v26, v26, v37
	v_exp_f32_e32 v26, v26
	v_cvt_i32_f32_e32 v37, v38
	v_cmp_ngt_f32_e64 s[0:1], s2, v7
	v_sub_f32_e32 v11, v11, v45
	v_sub_f32_e32 v10, v10, v45
	v_cndmask_b32_e64 v5, 0, v5, s[0:1]
	v_cmp_nlt_f32_e64 s[0:1], s4, v7
	v_ldexp_f32 v7, v26, v37
	v_mul_f32_e32 v26, 0x3fb8aa3b, v17
	v_fma_f32 v37, v17, s3, -v26
	v_rndne_f32_e32 v38, v26
	v_fmac_f32_e32 v37, 0x32a5705f, v17
	v_sub_f32_e32 v26, v26, v38
	v_add_f32_e32 v26, v26, v37
	v_exp_f32_e32 v26, v26
	v_cvt_i32_f32_e32 v37, v38
	v_cndmask_b32_e64 v43, v49, v5, s[0:1]
	v_cmp_ngt_f32_e64 s[0:1], s2, v6
	v_sub_f32_e32 v9, v9, v45
	v_sub_f32_e32 v8, v8, v45
	v_cndmask_b32_e64 v7, 0, v7, s[0:1]
	v_cmp_nlt_f32_e64 s[0:1], s4, v6
	v_ldexp_f32 v6, v26, v37
	v_add_f32_e32 v5, v47, v43
	v_cndmask_b32_e64 v41, v49, v7, s[0:1]
	v_sub_f32_e32 v7, v36, v45
	v_mul_f32_e32 v26, 0x3fb8aa3b, v7
	v_fma_f32 v36, v7, s3, -v26
	v_rndne_f32_e32 v37, v26
	v_fmac_f32_e32 v36, 0x32a5705f, v7
	v_sub_f32_e32 v26, v26, v37
	v_add_f32_e32 v26, v26, v36
	v_exp_f32_e32 v26, v26
	v_cvt_i32_f32_e32 v36, v37
	v_cmp_ngt_f32_e64 s[0:1], s2, v17
	v_add_f32_e32 v5, v5, v41
	v_sub_f32_e32 v24, v24, v45
	v_cndmask_b32_e64 v6, 0, v6, s[0:1]
	v_cmp_nlt_f32_e64 s[0:1], s4, v17
	v_sub_f32_e32 v17, v35, v45
	v_sub_f32_e32 v1, v1, v45
	v_cndmask_b32_e64 v40, v49, v6, s[0:1]
	v_ldexp_f32 v6, v26, v36
	v_mul_f32_e32 v26, 0x3fb8aa3b, v17
	v_fma_f32 v35, v17, s3, -v26
	v_rndne_f32_e32 v36, v26
	v_fmac_f32_e32 v35, 0x32a5705f, v17
	v_sub_f32_e32 v26, v26, v36
	v_add_f32_e32 v26, v26, v35
	v_exp_f32_e32 v26, v26
	v_cvt_i32_f32_e32 v35, v36
	v_cmp_ngt_f32_e64 s[0:1], s2, v7
	v_add_f32_e32 v5, v5, v40
	s_nop 0
	v_cndmask_b32_e64 v6, 0, v6, s[0:1]
	v_cmp_nlt_f32_e64 s[0:1], s4, v7
	v_sub_f32_e32 v7, v21, v45
	v_mul_f32_e32 v21, 0x3fb8aa3b, v7
	v_cndmask_b32_e64 v39, v49, v6, s[0:1]
	v_ldexp_f32 v6, v26, v35
	v_fma_f32 v26, v7, s3, -v21
	v_rndne_f32_e32 v35, v21
	v_fmac_f32_e32 v26, 0x32a5705f, v7
	v_sub_f32_e32 v21, v21, v35
	v_add_f32_e32 v21, v21, v26
	v_exp_f32_e32 v21, v21
	v_cvt_i32_f32_e32 v26, v35
	v_cmp_ngt_f32_e64 s[0:1], s2, v17
	v_add_f32_e32 v5, v5, v39
	s_nop 0
	v_cndmask_b32_e64 v6, 0, v6, s[0:1]
	v_cmp_nlt_f32_e64 s[0:1], s4, v17
	v_mul_f32_e32 v17, 0x3fb8aa3b, v15
	s_nop 0
	v_cndmask_b32_e64 v38, v49, v6, s[0:1]
	v_ldexp_f32 v6, v21, v26
	v_fma_f32 v21, v15, s3, -v17
	v_rndne_f32_e32 v26, v17
	v_fmac_f32_e32 v21, 0x32a5705f, v15
	v_sub_f32_e32 v17, v17, v26
	v_add_f32_e32 v17, v17, v21
	v_exp_f32_e32 v17, v17
	v_cvt_i32_f32_e32 v21, v26
	v_cmp_ngt_f32_e64 s[0:1], s2, v7
	v_add_f32_e32 v5, v5, v38
	s_nop 0
	v_cndmask_b32_e64 v6, 0, v6, s[0:1]
	v_cmp_nlt_f32_e64 s[0:1], s4, v7
	v_sub_f32_e32 v7, v34, v45
	s_nop 0
	v_cndmask_b32_e64 v37, v49, v6, s[0:1]
	v_ldexp_f32 v6, v17, v21
	v_mul_f32_e32 v17, 0x3fb8aa3b, v7
	v_fma_f32 v21, v7, s3, -v17
	v_rndne_f32_e32 v26, v17
	v_fmac_f32_e32 v21, 0x32a5705f, v7
	v_sub_f32_e32 v17, v17, v26
	v_add_f32_e32 v17, v17, v21
	v_exp_f32_e32 v17, v17
	v_cvt_i32_f32_e32 v21, v26
	v_cmp_ngt_f32_e64 s[0:1], s2, v15
	v_add_f32_e32 v5, v5, v37
	s_nop 0
	v_cndmask_b32_e64 v6, 0, v6, s[0:1]
	v_cmp_nlt_f32_e64 s[0:1], s4, v15
	v_sub_f32_e32 v15, v29, v45
	s_nop 0
	v_cndmask_b32_e64 v36, v49, v6, s[0:1]
	v_ldexp_f32 v6, v17, v21
	v_mul_f32_e32 v17, 0x3fb8aa3b, v15
	;; [unrolled: 17-line block ×3, first 2 shown]
	v_fma_f32 v18, v7, s3, -v17
	v_rndne_f32_e32 v21, v17
	v_fmac_f32_e32 v18, 0x32a5705f, v7
	v_sub_f32_e32 v17, v17, v21
	v_add_f32_e32 v17, v17, v18
	v_exp_f32_e32 v17, v17
	v_cvt_i32_f32_e32 v18, v21
	v_cmp_ngt_f32_e64 s[0:1], s2, v15
	v_add_f32_e32 v5, v5, v35
	s_nop 0
	v_cndmask_b32_e64 v6, 0, v6, s[0:1]
	v_cmp_nlt_f32_e64 s[0:1], s4, v15
	v_mul_f32_e32 v15, 0x3fb8aa3b, v13
	s_nop 0
	v_cndmask_b32_e64 v34, v49, v6, s[0:1]
	v_ldexp_f32 v6, v17, v18
	v_fma_f32 v17, v13, s3, -v15
	v_rndne_f32_e32 v18, v15
	v_fmac_f32_e32 v17, 0x32a5705f, v13
	v_sub_f32_e32 v15, v15, v18
	v_add_f32_e32 v15, v15, v17
	v_exp_f32_e32 v15, v15
	v_cvt_i32_f32_e32 v17, v18
	v_cmp_ngt_f32_e64 s[0:1], s2, v7
	v_add_f32_e32 v5, v5, v34
	s_nop 0
	v_cndmask_b32_e64 v6, 0, v6, s[0:1]
	v_cmp_nlt_f32_e64 s[0:1], s4, v7
	v_sub_f32_e32 v7, v23, v45
	s_nop 0
	v_cndmask_b32_e64 v29, v49, v6, s[0:1]
	v_ldexp_f32 v6, v15, v17
	v_mul_f32_e32 v15, 0x3fb8aa3b, v7
	v_fma_f32 v17, v7, s3, -v15
	v_rndne_f32_e32 v18, v15
	v_fmac_f32_e32 v17, 0x32a5705f, v7
	v_sub_f32_e32 v15, v15, v18
	v_add_f32_e32 v15, v15, v17
	v_exp_f32_e32 v15, v15
	v_cvt_i32_f32_e32 v17, v18
	v_cmp_ngt_f32_e64 s[0:1], s2, v13
	v_add_f32_e32 v5, v5, v29
	s_nop 0
	v_cndmask_b32_e64 v6, 0, v6, s[0:1]
	v_cmp_nlt_f32_e64 s[0:1], s4, v13
	v_sub_f32_e32 v13, v22, v45
	s_nop 0
	v_cndmask_b32_e64 v26, v49, v6, s[0:1]
	v_ldexp_f32 v6, v15, v17
	v_mul_f32_e32 v15, 0x3fb8aa3b, v13
	;; [unrolled: 17-line block ×3, first 2 shown]
	v_fma_f32 v16, v7, s3, -v15
	v_rndne_f32_e32 v17, v15
	v_fmac_f32_e32 v16, 0x32a5705f, v7
	v_sub_f32_e32 v15, v15, v17
	v_add_f32_e32 v15, v15, v16
	v_exp_f32_e32 v15, v15
	v_cvt_i32_f32_e32 v16, v17
	v_cmp_ngt_f32_e64 s[0:1], s2, v13
	v_add_f32_e32 v5, v5, v23
	s_nop 0
	v_cndmask_b32_e64 v6, 0, v6, s[0:1]
	v_cmp_nlt_f32_e64 s[0:1], s4, v13
	v_mul_f32_e32 v13, 0x3fb8aa3b, v11
	s_nop 0
	v_cndmask_b32_e64 v22, v49, v6, s[0:1]
	v_ldexp_f32 v6, v15, v16
	v_fma_f32 v15, v11, s3, -v13
	v_rndne_f32_e32 v16, v13
	v_fmac_f32_e32 v15, 0x32a5705f, v11
	v_sub_f32_e32 v13, v13, v16
	v_add_f32_e32 v13, v13, v15
	v_exp_f32_e32 v13, v13
	v_cvt_i32_f32_e32 v15, v16
	v_cmp_ngt_f32_e64 s[0:1], s2, v7
	v_add_f32_e32 v5, v5, v22
	s_nop 0
	v_cndmask_b32_e64 v6, 0, v6, s[0:1]
	v_cmp_nlt_f32_e64 s[0:1], s4, v7
	v_sub_f32_e32 v7, v20, v45
	s_nop 0
	v_cndmask_b32_e64 v21, v49, v6, s[0:1]
	v_ldexp_f32 v6, v13, v15
	v_mul_f32_e32 v13, 0x3fb8aa3b, v7
	v_fma_f32 v15, v7, s3, -v13
	v_rndne_f32_e32 v16, v13
	v_fmac_f32_e32 v15, 0x32a5705f, v7
	v_sub_f32_e32 v13, v13, v16
	v_add_f32_e32 v13, v13, v15
	v_exp_f32_e32 v13, v13
	v_cvt_i32_f32_e32 v15, v16
	v_cmp_ngt_f32_e64 s[0:1], s2, v11
	v_add_f32_e32 v5, v5, v21
	s_nop 0
	v_cndmask_b32_e64 v6, 0, v6, s[0:1]
	v_cmp_nlt_f32_e64 s[0:1], s4, v11
	v_sub_f32_e32 v11, v19, v45
	s_nop 0
	v_cndmask_b32_e64 v20, v49, v6, s[0:1]
	v_ldexp_f32 v6, v13, v15
	v_mul_f32_e32 v13, 0x3fb8aa3b, v11
	v_fma_f32 v15, v11, s3, -v13
	v_rndne_f32_e32 v16, v13
	v_fmac_f32_e32 v15, 0x32a5705f, v11
	v_sub_f32_e32 v13, v13, v16
	v_add_f32_e32 v13, v13, v15
	v_exp_f32_e32 v13, v13
	v_cvt_i32_f32_e32 v15, v16
	v_cmp_ngt_f32_e64 s[0:1], s2, v7
	v_add_f32_e32 v5, v5, v20
	s_nop 0
	v_cndmask_b32_e64 v6, 0, v6, s[0:1]
	v_cmp_nlt_f32_e64 s[0:1], s4, v7
	v_sub_f32_e32 v7, v14, v45
	s_nop 0
	v_cndmask_b32_e64 v19, v49, v6, s[0:1]
	v_ldexp_f32 v6, v13, v15
	v_mul_f32_e32 v13, 0x3fb8aa3b, v7
	v_fma_f32 v14, v7, s3, -v13
	v_rndne_f32_e32 v15, v13
	v_fmac_f32_e32 v14, 0x32a5705f, v7
	v_sub_f32_e32 v13, v13, v15
	v_add_f32_e32 v13, v13, v14
	v_exp_f32_e32 v13, v13
	v_cvt_i32_f32_e32 v14, v15
	v_cmp_ngt_f32_e64 s[0:1], s2, v11
	v_add_f32_e32 v5, v5, v19
	s_nop 0
	v_cndmask_b32_e64 v6, 0, v6, s[0:1]
	v_cmp_nlt_f32_e64 s[0:1], s4, v11
	v_mul_f32_e32 v11, 0x3fb8aa3b, v10
	s_nop 0
	v_cndmask_b32_e64 v18, v49, v6, s[0:1]
	v_ldexp_f32 v6, v13, v14
	v_fma_f32 v13, v10, s3, -v11
	v_rndne_f32_e32 v14, v11
	v_fmac_f32_e32 v13, 0x32a5705f, v10
	v_sub_f32_e32 v11, v11, v14
	v_add_f32_e32 v11, v11, v13
	v_exp_f32_e32 v11, v11
	v_cvt_i32_f32_e32 v13, v14
	v_cmp_ngt_f32_e64 s[0:1], s2, v7
	v_add_f32_e32 v5, v5, v18
	s_nop 0
	v_cndmask_b32_e64 v6, 0, v6, s[0:1]
	v_cmp_nlt_f32_e64 s[0:1], s4, v7
	v_sub_f32_e32 v7, v33, v45
	s_nop 0
	v_cndmask_b32_e64 v17, v49, v6, s[0:1]
	v_ldexp_f32 v6, v11, v13
	v_mul_f32_e32 v11, 0x3fb8aa3b, v7
	v_fma_f32 v13, v7, s3, -v11
	v_rndne_f32_e32 v14, v11
	v_fmac_f32_e32 v13, 0x32a5705f, v7
	v_sub_f32_e32 v11, v11, v14
	v_add_f32_e32 v11, v11, v13
	v_exp_f32_e32 v11, v11
	v_cvt_i32_f32_e32 v13, v14
	v_cmp_ngt_f32_e64 s[0:1], s2, v10
	v_add_f32_e32 v5, v5, v17
	s_nop 0
	v_cndmask_b32_e64 v6, 0, v6, s[0:1]
	v_cmp_nlt_f32_e64 s[0:1], s4, v10
	v_sub_f32_e32 v10, v32, v45
	s_nop 0
	v_cndmask_b32_e64 v16, v49, v6, s[0:1]
	v_ldexp_f32 v6, v11, v13
	v_mul_f32_e32 v11, 0x3fb8aa3b, v10
	;; [unrolled: 17-line block ×3, first 2 shown]
	v_fma_f32 v12, v7, s3, -v11
	v_rndne_f32_e32 v13, v11
	v_fmac_f32_e32 v12, 0x32a5705f, v7
	v_sub_f32_e32 v11, v11, v13
	v_add_f32_e32 v11, v11, v12
	v_exp_f32_e32 v11, v11
	v_cvt_i32_f32_e32 v12, v13
	v_cmp_ngt_f32_e64 s[0:1], s2, v10
	v_add_f32_e32 v5, v5, v15
	s_nop 0
	v_cndmask_b32_e64 v6, 0, v6, s[0:1]
	v_cmp_nlt_f32_e64 s[0:1], s4, v10
	v_mul_f32_e32 v10, 0x3fb8aa3b, v9
	s_nop 0
	v_cndmask_b32_e64 v14, v49, v6, s[0:1]
	v_ldexp_f32 v6, v11, v12
	v_fma_f32 v11, v9, s3, -v10
	v_rndne_f32_e32 v12, v10
	v_fmac_f32_e32 v11, 0x32a5705f, v9
	v_sub_f32_e32 v10, v10, v12
	v_add_f32_e32 v10, v10, v11
	v_exp_f32_e32 v10, v10
	v_cvt_i32_f32_e32 v11, v12
	v_cmp_ngt_f32_e64 s[0:1], s2, v7
	v_add_f32_e32 v5, v5, v14
	s_nop 0
	v_cndmask_b32_e64 v6, 0, v6, s[0:1]
	v_cmp_nlt_f32_e64 s[0:1], s4, v7
	v_sub_f32_e32 v7, v31, v45
	s_nop 0
	v_cndmask_b32_e64 v13, v49, v6, s[0:1]
	v_ldexp_f32 v6, v10, v11
	v_mul_f32_e32 v10, 0x3fb8aa3b, v7
	v_fma_f32 v11, v7, s3, -v10
	v_rndne_f32_e32 v12, v10
	v_fmac_f32_e32 v11, 0x32a5705f, v7
	v_sub_f32_e32 v10, v10, v12
	v_add_f32_e32 v10, v10, v11
	v_exp_f32_e32 v10, v10
	v_cvt_i32_f32_e32 v11, v12
	v_cmp_ngt_f32_e64 s[0:1], s2, v9
	v_add_f32_e32 v5, v5, v13
	s_nop 0
	v_cndmask_b32_e64 v6, 0, v6, s[0:1]
	v_cmp_nlt_f32_e64 s[0:1], s4, v9
	v_sub_f32_e32 v9, v30, v45
	s_nop 0
	v_cndmask_b32_e64 v12, v49, v6, s[0:1]
	v_ldexp_f32 v6, v10, v11
	v_mul_f32_e32 v10, 0x3fb8aa3b, v9
	;; [unrolled: 17-line block ×3, first 2 shown]
	v_fma_f32 v25, v7, s3, -v10
	v_rndne_f32_e32 v30, v10
	v_fmac_f32_e32 v25, 0x32a5705f, v7
	v_sub_f32_e32 v10, v10, v30
	v_add_f32_e32 v10, v10, v25
	v_exp_f32_e32 v25, v10
	v_cvt_i32_f32_e32 v30, v30
	v_cmp_ngt_f32_e64 s[0:1], s2, v9
	v_add_f32_e32 v5, v5, v11
	s_nop 0
	v_cndmask_b32_e64 v6, 0, v6, s[0:1]
	v_cmp_nlt_f32_e64 s[0:1], s4, v9
	v_mul_f32_e32 v9, 0x3fb8aa3b, v8
	s_nop 0
	v_cndmask_b32_e64 v10, v49, v6, s[0:1]
	v_ldexp_f32 v6, v25, v30
	v_fma_f32 v25, v8, s3, -v9
	v_rndne_f32_e32 v30, v9
	v_fmac_f32_e32 v25, 0x32a5705f, v8
	v_sub_f32_e32 v9, v9, v30
	v_add_f32_e32 v9, v9, v25
	v_exp_f32_e32 v25, v9
	v_cvt_i32_f32_e32 v30, v30
	v_cmp_ngt_f32_e64 s[0:1], s2, v7
	v_add_f32_e32 v5, v5, v10
	s_nop 0
	v_cndmask_b32_e64 v6, 0, v6, s[0:1]
	v_cmp_nlt_f32_e64 s[0:1], s4, v7
	v_sub_f32_e32 v7, v28, v45
	s_nop 0
	v_cndmask_b32_e64 v9, v49, v6, s[0:1]
	v_ldexp_f32 v6, v25, v30
	v_mul_f32_e32 v25, 0x3fb8aa3b, v7
	v_fma_f32 v28, v7, s3, -v25
	v_rndne_f32_e32 v30, v25
	v_fmac_f32_e32 v28, 0x32a5705f, v7
	v_sub_f32_e32 v25, v25, v30
	v_add_f32_e32 v25, v25, v28
	v_exp_f32_e32 v25, v25
	v_cvt_i32_f32_e32 v28, v30
	v_cmp_ngt_f32_e64 s[0:1], s2, v8
	v_add_f32_e32 v5, v5, v9
	s_nop 0
	v_cndmask_b32_e64 v6, 0, v6, s[0:1]
	v_cmp_nlt_f32_e64 s[0:1], s4, v8
	s_nop 1
	v_cndmask_b32_e64 v8, v49, v6, s[0:1]
	v_ldexp_f32 v6, v25, v28
	v_sub_f32_e32 v25, v27, v45
	v_mul_f32_e32 v27, 0x3fb8aa3b, v25
	v_fma_f32 v28, v25, s3, -v27
	v_rndne_f32_e32 v30, v27
	v_fmac_f32_e32 v28, 0x32a5705f, v25
	v_sub_f32_e32 v27, v27, v30
	v_add_f32_e32 v27, v27, v28
	v_exp_f32_e32 v27, v27
	v_cvt_i32_f32_e32 v28, v30
	v_cmp_ngt_f32_e64 s[0:1], s2, v7
	v_add_f32_e32 v5, v5, v8
	s_nop 0
	v_cndmask_b32_e64 v6, 0, v6, s[0:1]
	v_cmp_nlt_f32_e64 s[0:1], s4, v7
	s_nop 1
	v_cndmask_b32_e64 v7, v49, v6, s[0:1]
	v_ldexp_f32 v6, v27, v28
	v_mul_f32_e32 v27, 0x3fb8aa3b, v24
	v_fma_f32 v28, v24, s3, -v27
	v_rndne_f32_e32 v30, v27
	v_fmac_f32_e32 v28, 0x32a5705f, v24
	v_sub_f32_e32 v27, v27, v30
	v_add_f32_e32 v27, v27, v28
	v_exp_f32_e32 v27, v27
	v_cvt_i32_f32_e32 v28, v30
	v_cmp_ngt_f32_e64 s[0:1], s2, v25
	v_add_f32_e32 v5, v5, v7
	s_nop 0
	v_cndmask_b32_e64 v6, 0, v6, s[0:1]
	v_cmp_nlt_f32_e64 s[0:1], s4, v25
	s_nop 1
	v_cndmask_b32_e64 v6, v49, v6, s[0:1]
	v_add_f32_e32 v25, v5, v6
	v_ldexp_f32 v5, v27, v28
	v_mul_f32_e32 v27, 0x3fb8aa3b, v1
	v_fma_f32 v28, v1, s3, -v27
	v_rndne_f32_e32 v30, v27
	v_fmac_f32_e32 v28, 0x32a5705f, v1
	v_sub_f32_e32 v27, v27, v30
	v_add_f32_e32 v27, v27, v28
	v_exp_f32_e32 v27, v27
	v_cvt_i32_f32_e32 v28, v30
	v_cmp_ngt_f32_e64 s[0:1], s2, v24
	s_nop 1
	v_cndmask_b32_e64 v5, 0, v5, s[0:1]
	v_cmp_nlt_f32_e64 s[0:1], s4, v24
	s_nop 1
	v_cndmask_b32_e64 v5, v49, v5, s[0:1]
	v_add_f32_e32 v24, v25, v5
	v_ldexp_f32 v25, v27, v28
	v_cmp_ngt_f32_e64 s[0:1], s2, v1
	s_nop 1
	v_cndmask_b32_e64 v25, 0, v25, s[0:1]
	v_cmp_nlt_f32_e64 s[0:1], s4, v1
	s_nop 1
	v_cndmask_b32_e64 v1, v49, v25, s[0:1]
	v_add_f32_e32 v24, v24, v1
	ds_bpermute_b32 v4, v4, v24
	v_cmp_gt_i32_e64 s[0:1], s10, v0
	s_and_b64 s[0:1], vcc, s[0:1]
	s_waitcnt lgkmcnt(0)
	v_add_f32_e32 v4, v24, v4
	ds_bpermute_b32 v24, v42, v4
	s_waitcnt lgkmcnt(0)
	v_add_f32_e32 v4, v4, v24
	ds_bpermute_b32 v24, v44, v4
	;; [unrolled: 3-line block ×4, first 2 shown]
	s_and_saveexec_b64 s[2:3], s[0:1]
	s_cbranch_execz .LBB21_109
; %bb.37:
	s_mov_b32 s0, 0xc61c4000
	v_cmp_neq_f32_e64 s[0:1], s0, v45
	s_waitcnt lgkmcnt(0)
	v_add_f32_e32 v4, v4, v24
	v_mov_b32_e32 v24, 0
	v_mov_b32_e32 v25, 0
	s_and_saveexec_b64 s[2:3], s[0:1]
	s_cbranch_execz .LBB21_39
; %bb.38:
	v_div_scale_f32 v25, s[4:5], v4, v4, v47
	v_rcp_f32_e32 v27, v25
	v_div_scale_f32 v28, vcc, v47, v4, v47
	v_fma_f32 v30, -v25, v27, 1.0
	v_fmac_f32_e32 v27, v30, v27
	v_mul_f32_e32 v30, v28, v27
	v_fma_f32 v31, -v25, v30, v28
	v_fmac_f32_e32 v30, v31, v27
	v_fma_f32 v25, -v25, v30, v28
	v_div_fmas_f32 v25, v25, v27, v30
	v_div_fixup_f32 v25, v25, v4, v47
	v_cvt_pk_bf16_f32 v25, v25, s0
.LBB21_39:
	s_or_b64 exec, exec, s[2:3]
	s_and_saveexec_b64 s[2:3], s[0:1]
	s_cbranch_execz .LBB21_41
; %bb.40:
	v_div_scale_f32 v24, s[4:5], v4, v4, v43
	v_rcp_f32_e32 v27, v24
	v_div_scale_f32 v28, vcc, v43, v4, v43
	v_fma_f32 v30, -v24, v27, 1.0
	v_fmac_f32_e32 v27, v30, v27
	v_mul_f32_e32 v30, v28, v27
	v_fma_f32 v31, -v24, v30, v28
	v_fmac_f32_e32 v30, v31, v27
	v_fma_f32 v24, -v24, v30, v28
	v_div_fmas_f32 v24, v24, v27, v30
	v_div_fixup_f32 v24, v24, v4, v43
	v_cvt_pk_bf16_f32 v24, v24, s0
.LBB21_41:
	s_or_b64 exec, exec, s[2:3]
	v_mov_b32_e32 v27, 0
	v_mov_b32_e32 v28, 0
	s_and_saveexec_b64 s[2:3], s[0:1]
	s_cbranch_execz .LBB21_43
; %bb.42:
	v_div_scale_f32 v28, s[4:5], v4, v4, v41
	v_rcp_f32_e32 v30, v28
	v_div_scale_f32 v31, vcc, v41, v4, v41
	v_fma_f32 v32, -v28, v30, 1.0
	v_fmac_f32_e32 v30, v32, v30
	v_mul_f32_e32 v32, v31, v30
	v_fma_f32 v33, -v28, v32, v31
	v_fmac_f32_e32 v32, v33, v30
	v_fma_f32 v28, -v28, v32, v31
	v_div_fmas_f32 v28, v28, v30, v32
	v_div_fixup_f32 v28, v28, v4, v41
	v_cvt_pk_bf16_f32 v28, v28, s0
.LBB21_43:
	s_or_b64 exec, exec, s[2:3]
	s_and_saveexec_b64 s[2:3], s[0:1]
	s_cbranch_execz .LBB21_45
; %bb.44:
	v_div_scale_f32 v27, s[4:5], v4, v4, v40
	v_rcp_f32_e32 v30, v27
	v_div_scale_f32 v31, vcc, v40, v4, v40
	v_fma_f32 v32, -v27, v30, 1.0
	v_fmac_f32_e32 v30, v32, v30
	v_mul_f32_e32 v32, v31, v30
	v_fma_f32 v33, -v27, v32, v31
	v_fmac_f32_e32 v32, v33, v30
	v_fma_f32 v27, -v27, v32, v31
	v_div_fmas_f32 v27, v27, v30, v32
	v_div_fixup_f32 v27, v27, v4, v40
	v_cvt_pk_bf16_f32 v27, v27, s0
.LBB21_45:
	s_or_b64 exec, exec, s[2:3]
	v_mov_b32_e32 v30, s12
	v_mov_b32_e32 v31, s13
	s_mov_b32 s2, 0x5040100
	v_lshl_add_u64 v[2:3], v[2:3], 1, v[30:31]
	v_perm_b32 v30, v24, v25, s2
	v_add_u32_e32 v24, 0x80, v0
	v_perm_b32 v31, v27, v28, s2
	v_cmp_gt_u32_e32 vcc, s10, v24
	global_store_dwordx2 v[2:3], v[30:31], off
	s_and_b64 exec, exec, vcc
	s_cbranch_execz .LBB21_109
; %bb.46:
	v_mov_b32_e32 v24, 0
	v_mov_b32_e32 v25, 0
	s_and_saveexec_b64 s[2:3], s[0:1]
	s_cbranch_execz .LBB21_48
; %bb.47:
	v_div_scale_f32 v25, s[4:5], v4, v4, v39
	v_rcp_f32_e32 v27, v25
	v_div_scale_f32 v28, vcc, v39, v4, v39
	v_fma_f32 v30, -v25, v27, 1.0
	v_fmac_f32_e32 v27, v30, v27
	v_mul_f32_e32 v30, v28, v27
	v_fma_f32 v31, -v25, v30, v28
	v_fmac_f32_e32 v30, v31, v27
	v_fma_f32 v25, -v25, v30, v28
	v_div_fmas_f32 v25, v25, v27, v30
	v_div_fixup_f32 v25, v25, v4, v39
	v_cvt_pk_bf16_f32 v25, v25, s0
.LBB21_48:
	s_or_b64 exec, exec, s[2:3]
	s_and_saveexec_b64 s[2:3], s[0:1]
	s_cbranch_execz .LBB21_50
; %bb.49:
	v_div_scale_f32 v24, s[4:5], v4, v4, v38
	v_rcp_f32_e32 v27, v24
	v_div_scale_f32 v28, vcc, v38, v4, v38
	v_fma_f32 v30, -v24, v27, 1.0
	v_fmac_f32_e32 v27, v30, v27
	v_mul_f32_e32 v30, v28, v27
	v_fma_f32 v31, -v24, v30, v28
	v_fmac_f32_e32 v30, v31, v27
	v_fma_f32 v24, -v24, v30, v28
	v_div_fmas_f32 v24, v24, v27, v30
	v_div_fixup_f32 v24, v24, v4, v38
	v_cvt_pk_bf16_f32 v24, v24, s0
.LBB21_50:
	s_or_b64 exec, exec, s[2:3]
	v_mov_b32_e32 v27, 0
	v_mov_b32_e32 v28, 0
	s_and_saveexec_b64 s[2:3], s[0:1]
	s_cbranch_execz .LBB21_52
; %bb.51:
	v_div_scale_f32 v28, s[4:5], v4, v4, v37
	v_rcp_f32_e32 v30, v28
	v_div_scale_f32 v31, vcc, v37, v4, v37
	v_fma_f32 v32, -v28, v30, 1.0
	v_fmac_f32_e32 v30, v32, v30
	v_mul_f32_e32 v32, v31, v30
	v_fma_f32 v33, -v28, v32, v31
	v_fmac_f32_e32 v32, v33, v30
	v_fma_f32 v28, -v28, v32, v31
	v_div_fmas_f32 v28, v28, v30, v32
	v_div_fixup_f32 v28, v28, v4, v37
	v_cvt_pk_bf16_f32 v28, v28, s0
.LBB21_52:
	s_or_b64 exec, exec, s[2:3]
	s_and_saveexec_b64 s[2:3], s[0:1]
	s_cbranch_execz .LBB21_54
; %bb.53:
	v_div_scale_f32 v27, s[4:5], v4, v4, v36
	v_rcp_f32_e32 v30, v27
	v_div_scale_f32 v31, vcc, v36, v4, v36
	v_fma_f32 v32, -v27, v30, 1.0
	v_fmac_f32_e32 v30, v32, v30
	v_mul_f32_e32 v32, v31, v30
	v_fma_f32 v33, -v27, v32, v31
	v_fmac_f32_e32 v32, v33, v30
	v_fma_f32 v27, -v27, v32, v31
	v_div_fmas_f32 v27, v27, v30, v32
	v_div_fixup_f32 v27, v27, v4, v36
	v_cvt_pk_bf16_f32 v27, v27, s0
.LBB21_54:
	s_or_b64 exec, exec, s[2:3]
	s_mov_b32 s2, 0x5040100
	v_perm_b32 v30, v24, v25, s2
	v_add_u32_e32 v24, 0x100, v0
	v_perm_b32 v31, v27, v28, s2
	v_cmp_gt_u32_e32 vcc, s10, v24
	global_store_dwordx2 v[2:3], v[30:31], off offset:256
	s_and_b64 exec, exec, vcc
	s_cbranch_execz .LBB21_109
; %bb.55:
	v_mov_b32_e32 v24, 0
	v_mov_b32_e32 v25, 0
	s_and_saveexec_b64 s[2:3], s[0:1]
	s_cbranch_execz .LBB21_57
; %bb.56:
	v_div_scale_f32 v25, s[4:5], v4, v4, v35
	v_rcp_f32_e32 v27, v25
	v_div_scale_f32 v28, vcc, v35, v4, v35
	v_fma_f32 v30, -v25, v27, 1.0
	v_fmac_f32_e32 v27, v30, v27
	v_mul_f32_e32 v30, v28, v27
	v_fma_f32 v31, -v25, v30, v28
	v_fmac_f32_e32 v30, v31, v27
	v_fma_f32 v25, -v25, v30, v28
	v_div_fmas_f32 v25, v25, v27, v30
	v_div_fixup_f32 v25, v25, v4, v35
	v_cvt_pk_bf16_f32 v25, v25, s0
.LBB21_57:
	s_or_b64 exec, exec, s[2:3]
	s_and_saveexec_b64 s[2:3], s[0:1]
	s_cbranch_execz .LBB21_59
; %bb.58:
	v_div_scale_f32 v24, s[4:5], v4, v4, v34
	v_rcp_f32_e32 v27, v24
	v_div_scale_f32 v28, vcc, v34, v4, v34
	v_fma_f32 v30, -v24, v27, 1.0
	v_fmac_f32_e32 v27, v30, v27
	v_mul_f32_e32 v30, v28, v27
	v_fma_f32 v31, -v24, v30, v28
	v_fmac_f32_e32 v30, v31, v27
	v_fma_f32 v24, -v24, v30, v28
	v_div_fmas_f32 v24, v24, v27, v30
	v_div_fixup_f32 v24, v24, v4, v34
	v_cvt_pk_bf16_f32 v24, v24, s0
.LBB21_59:
	s_or_b64 exec, exec, s[2:3]
	v_mov_b32_e32 v27, 0
	v_mov_b32_e32 v28, 0
	s_and_saveexec_b64 s[2:3], s[0:1]
	s_cbranch_execz .LBB21_61
; %bb.60:
	v_div_scale_f32 v28, s[4:5], v4, v4, v29
	v_rcp_f32_e32 v30, v28
	v_div_scale_f32 v31, vcc, v29, v4, v29
	v_fma_f32 v32, -v28, v30, 1.0
	v_fmac_f32_e32 v30, v32, v30
	v_mul_f32_e32 v32, v31, v30
	v_fma_f32 v33, -v28, v32, v31
	v_fmac_f32_e32 v32, v33, v30
	v_fma_f32 v28, -v28, v32, v31
	v_div_fmas_f32 v28, v28, v30, v32
	v_div_fixup_f32 v28, v28, v4, v29
	v_cvt_pk_bf16_f32 v28, v28, s0
.LBB21_61:
	s_or_b64 exec, exec, s[2:3]
	s_and_saveexec_b64 s[2:3], s[0:1]
	s_cbranch_execz .LBB21_63
; %bb.62:
	v_div_scale_f32 v27, s[4:5], v4, v4, v26
	v_rcp_f32_e32 v29, v27
	v_div_scale_f32 v30, vcc, v26, v4, v26
	v_fma_f32 v31, -v27, v29, 1.0
	v_fmac_f32_e32 v29, v31, v29
	v_mul_f32_e32 v31, v30, v29
	v_fma_f32 v32, -v27, v31, v30
	v_fmac_f32_e32 v31, v32, v29
	v_fma_f32 v27, -v27, v31, v30
	v_div_fmas_f32 v27, v27, v29, v31
	v_div_fixup_f32 v26, v27, v4, v26
	v_cvt_pk_bf16_f32 v27, v26, s0
.LBB21_63:
	s_or_b64 exec, exec, s[2:3]
	s_mov_b32 s2, 0x5040100
	v_perm_b32 v26, v24, v25, s2
	v_add_u32_e32 v24, 0x180, v0
	v_perm_b32 v27, v27, v28, s2
	v_cmp_gt_u32_e32 vcc, s10, v24
	global_store_dwordx2 v[2:3], v[26:27], off offset:512
	s_and_b64 exec, exec, vcc
	s_cbranch_execz .LBB21_109
; %bb.64:
	v_mov_b32_e32 v24, 0
	v_mov_b32_e32 v25, 0
	s_and_saveexec_b64 s[2:3], s[0:1]
	s_cbranch_execz .LBB21_66
; %bb.65:
	v_div_scale_f32 v25, s[4:5], v4, v4, v23
	v_rcp_f32_e32 v26, v25
	v_div_scale_f32 v27, vcc, v23, v4, v23
	v_fma_f32 v28, -v25, v26, 1.0
	v_fmac_f32_e32 v26, v28, v26
	v_mul_f32_e32 v28, v27, v26
	v_fma_f32 v29, -v25, v28, v27
	v_fmac_f32_e32 v28, v29, v26
	v_fma_f32 v25, -v25, v28, v27
	v_div_fmas_f32 v25, v25, v26, v28
	v_div_fixup_f32 v23, v25, v4, v23
	v_cvt_pk_bf16_f32 v25, v23, s0
.LBB21_66:
	s_or_b64 exec, exec, s[2:3]
	s_and_saveexec_b64 s[2:3], s[0:1]
	s_cbranch_execz .LBB21_68
; %bb.67:
	v_div_scale_f32 v23, s[4:5], v4, v4, v22
	v_rcp_f32_e32 v24, v23
	v_div_scale_f32 v26, vcc, v22, v4, v22
	v_fma_f32 v27, -v23, v24, 1.0
	v_fmac_f32_e32 v24, v27, v24
	v_mul_f32_e32 v27, v26, v24
	v_fma_f32 v28, -v23, v27, v26
	v_fmac_f32_e32 v27, v28, v24
	v_fma_f32 v23, -v23, v27, v26
	v_div_fmas_f32 v23, v23, v24, v27
	v_div_fixup_f32 v22, v23, v4, v22
	v_cvt_pk_bf16_f32 v24, v22, s0
.LBB21_68:
	s_or_b64 exec, exec, s[2:3]
	v_mov_b32_e32 v22, 0
	v_mov_b32_e32 v23, 0
	s_and_saveexec_b64 s[2:3], s[0:1]
	s_cbranch_execz .LBB21_70
; %bb.69:
	v_div_scale_f32 v23, s[4:5], v4, v4, v21
	v_rcp_f32_e32 v26, v23
	v_div_scale_f32 v27, vcc, v21, v4, v21
	v_fma_f32 v28, -v23, v26, 1.0
	v_fmac_f32_e32 v26, v28, v26
	v_mul_f32_e32 v28, v27, v26
	v_fma_f32 v29, -v23, v28, v27
	v_fmac_f32_e32 v28, v29, v26
	v_fma_f32 v23, -v23, v28, v27
	v_div_fmas_f32 v23, v23, v26, v28
	v_div_fixup_f32 v21, v23, v4, v21
	v_cvt_pk_bf16_f32 v23, v21, s0
.LBB21_70:
	s_or_b64 exec, exec, s[2:3]
	s_and_saveexec_b64 s[2:3], s[0:1]
	s_cbranch_execz .LBB21_72
; %bb.71:
	v_div_scale_f32 v21, s[4:5], v4, v4, v20
	v_rcp_f32_e32 v22, v21
	v_div_scale_f32 v26, vcc, v20, v4, v20
	v_fma_f32 v27, -v21, v22, 1.0
	v_fmac_f32_e32 v22, v27, v22
	v_mul_f32_e32 v27, v26, v22
	v_fma_f32 v28, -v21, v27, v26
	v_fmac_f32_e32 v27, v28, v22
	v_fma_f32 v21, -v21, v27, v26
	v_div_fmas_f32 v21, v21, v22, v27
	v_div_fixup_f32 v20, v21, v4, v20
	v_cvt_pk_bf16_f32 v22, v20, s0
.LBB21_72:
	s_or_b64 exec, exec, s[2:3]
	s_mov_b32 s2, 0x5040100
	v_perm_b32 v21, v22, v23, s2
	v_perm_b32 v20, v24, v25, s2
	global_store_dwordx2 v[2:3], v[20:21], off offset:768
	v_add_u32_e32 v20, 0x200, v0
	v_cmp_gt_u32_e32 vcc, s10, v20
	s_and_b64 exec, exec, vcc
	s_cbranch_execz .LBB21_109
; %bb.73:
	v_mov_b32_e32 v20, 0
	v_mov_b32_e32 v21, 0
	s_and_saveexec_b64 s[2:3], s[0:1]
	s_cbranch_execz .LBB21_75
; %bb.74:
	v_div_scale_f32 v21, s[4:5], v4, v4, v19
	v_rcp_f32_e32 v22, v21
	v_div_scale_f32 v23, vcc, v19, v4, v19
	v_fma_f32 v24, -v21, v22, 1.0
	v_fmac_f32_e32 v22, v24, v22
	v_mul_f32_e32 v24, v23, v22
	v_fma_f32 v25, -v21, v24, v23
	v_fmac_f32_e32 v24, v25, v22
	v_fma_f32 v21, -v21, v24, v23
	v_div_fmas_f32 v21, v21, v22, v24
	v_div_fixup_f32 v19, v21, v4, v19
	v_cvt_pk_bf16_f32 v21, v19, s0
.LBB21_75:
	s_or_b64 exec, exec, s[2:3]
	s_and_saveexec_b64 s[2:3], s[0:1]
	s_cbranch_execz .LBB21_77
; %bb.76:
	v_div_scale_f32 v19, s[4:5], v4, v4, v18
	v_rcp_f32_e32 v20, v19
	v_div_scale_f32 v22, vcc, v18, v4, v18
	v_fma_f32 v23, -v19, v20, 1.0
	v_fmac_f32_e32 v20, v23, v20
	v_mul_f32_e32 v23, v22, v20
	v_fma_f32 v24, -v19, v23, v22
	v_fmac_f32_e32 v23, v24, v20
	v_fma_f32 v19, -v19, v23, v22
	v_div_fmas_f32 v19, v19, v20, v23
	v_div_fixup_f32 v18, v19, v4, v18
	v_cvt_pk_bf16_f32 v20, v18, s0
.LBB21_77:
	s_or_b64 exec, exec, s[2:3]
	v_mov_b32_e32 v18, 0
	v_mov_b32_e32 v19, 0
	s_and_saveexec_b64 s[2:3], s[0:1]
	s_cbranch_execz .LBB21_79
; %bb.78:
	v_div_scale_f32 v19, s[4:5], v4, v4, v17
	v_rcp_f32_e32 v22, v19
	v_div_scale_f32 v23, vcc, v17, v4, v17
	v_fma_f32 v24, -v19, v22, 1.0
	v_fmac_f32_e32 v22, v24, v22
	v_mul_f32_e32 v24, v23, v22
	v_fma_f32 v25, -v19, v24, v23
	v_fmac_f32_e32 v24, v25, v22
	v_fma_f32 v19, -v19, v24, v23
	v_div_fmas_f32 v19, v19, v22, v24
	v_div_fixup_f32 v17, v19, v4, v17
	v_cvt_pk_bf16_f32 v19, v17, s0
.LBB21_79:
	s_or_b64 exec, exec, s[2:3]
	s_and_saveexec_b64 s[2:3], s[0:1]
	s_cbranch_execz .LBB21_81
; %bb.80:
	v_div_scale_f32 v17, s[4:5], v4, v4, v16
	v_rcp_f32_e32 v18, v17
	v_div_scale_f32 v22, vcc, v16, v4, v16
	v_fma_f32 v23, -v17, v18, 1.0
	v_fmac_f32_e32 v18, v23, v18
	v_mul_f32_e32 v23, v22, v18
	v_fma_f32 v24, -v17, v23, v22
	v_fmac_f32_e32 v23, v24, v18
	v_fma_f32 v17, -v17, v23, v22
	v_div_fmas_f32 v17, v17, v18, v23
	v_div_fixup_f32 v16, v17, v4, v16
	v_cvt_pk_bf16_f32 v18, v16, s0
.LBB21_81:
	s_or_b64 exec, exec, s[2:3]
	s_mov_b32 s2, 0x5040100
	v_perm_b32 v17, v18, v19, s2
	v_perm_b32 v16, v20, v21, s2
	global_store_dwordx2 v[2:3], v[16:17], off offset:1024
	v_add_u32_e32 v16, 0x280, v0
	v_cmp_gt_u32_e32 vcc, s10, v16
	s_and_b64 exec, exec, vcc
	s_cbranch_execz .LBB21_109
; %bb.82:
	v_mov_b32_e32 v16, 0
	v_mov_b32_e32 v17, 0
	s_and_saveexec_b64 s[2:3], s[0:1]
	s_cbranch_execz .LBB21_84
; %bb.83:
	v_div_scale_f32 v17, s[4:5], v4, v4, v15
	v_rcp_f32_e32 v18, v17
	v_div_scale_f32 v19, vcc, v15, v4, v15
	v_fma_f32 v20, -v17, v18, 1.0
	v_fmac_f32_e32 v18, v20, v18
	v_mul_f32_e32 v20, v19, v18
	v_fma_f32 v21, -v17, v20, v19
	v_fmac_f32_e32 v20, v21, v18
	v_fma_f32 v17, -v17, v20, v19
	v_div_fmas_f32 v17, v17, v18, v20
	v_div_fixup_f32 v15, v17, v4, v15
	v_cvt_pk_bf16_f32 v17, v15, s0
.LBB21_84:
	s_or_b64 exec, exec, s[2:3]
	s_and_saveexec_b64 s[2:3], s[0:1]
	s_cbranch_execz .LBB21_86
; %bb.85:
	v_div_scale_f32 v15, s[4:5], v4, v4, v14
	v_rcp_f32_e32 v16, v15
	v_div_scale_f32 v18, vcc, v14, v4, v14
	v_fma_f32 v19, -v15, v16, 1.0
	v_fmac_f32_e32 v16, v19, v16
	v_mul_f32_e32 v19, v18, v16
	v_fma_f32 v20, -v15, v19, v18
	v_fmac_f32_e32 v19, v20, v16
	v_fma_f32 v15, -v15, v19, v18
	v_div_fmas_f32 v15, v15, v16, v19
	v_div_fixup_f32 v14, v15, v4, v14
	v_cvt_pk_bf16_f32 v16, v14, s0
.LBB21_86:
	s_or_b64 exec, exec, s[2:3]
	v_mov_b32_e32 v14, 0
	v_mov_b32_e32 v15, 0
	s_and_saveexec_b64 s[2:3], s[0:1]
	s_cbranch_execz .LBB21_88
; %bb.87:
	v_div_scale_f32 v15, s[4:5], v4, v4, v13
	v_rcp_f32_e32 v18, v15
	v_div_scale_f32 v19, vcc, v13, v4, v13
	v_fma_f32 v20, -v15, v18, 1.0
	v_fmac_f32_e32 v18, v20, v18
	v_mul_f32_e32 v20, v19, v18
	v_fma_f32 v21, -v15, v20, v19
	v_fmac_f32_e32 v20, v21, v18
	v_fma_f32 v15, -v15, v20, v19
	v_div_fmas_f32 v15, v15, v18, v20
	v_div_fixup_f32 v13, v15, v4, v13
	v_cvt_pk_bf16_f32 v15, v13, s0
.LBB21_88:
	s_or_b64 exec, exec, s[2:3]
	s_and_saveexec_b64 s[2:3], s[0:1]
	s_cbranch_execz .LBB21_90
; %bb.89:
	v_div_scale_f32 v13, s[4:5], v4, v4, v12
	v_rcp_f32_e32 v14, v13
	v_div_scale_f32 v18, vcc, v12, v4, v12
	v_fma_f32 v19, -v13, v14, 1.0
	v_fmac_f32_e32 v14, v19, v14
	v_mul_f32_e32 v19, v18, v14
	v_fma_f32 v20, -v13, v19, v18
	v_fmac_f32_e32 v19, v20, v14
	v_fma_f32 v13, -v13, v19, v18
	v_div_fmas_f32 v13, v13, v14, v19
	v_div_fixup_f32 v12, v13, v4, v12
	v_cvt_pk_bf16_f32 v14, v12, s0
.LBB21_90:
	s_or_b64 exec, exec, s[2:3]
	s_mov_b32 s2, 0x5040100
	v_perm_b32 v13, v14, v15, s2
	v_perm_b32 v12, v16, v17, s2
	global_store_dwordx2 v[2:3], v[12:13], off offset:1280
	v_add_u32_e32 v12, 0x300, v0
	v_cmp_gt_u32_e32 vcc, s10, v12
	s_and_b64 exec, exec, vcc
	s_cbranch_execz .LBB21_109
; %bb.91:
	v_mov_b32_e32 v12, 0
	v_mov_b32_e32 v13, 0
	s_and_saveexec_b64 s[2:3], s[0:1]
	s_cbranch_execz .LBB21_93
; %bb.92:
	v_div_scale_f32 v13, s[4:5], v4, v4, v11
	v_rcp_f32_e32 v14, v13
	v_div_scale_f32 v15, vcc, v11, v4, v11
	v_fma_f32 v16, -v13, v14, 1.0
	v_fmac_f32_e32 v14, v16, v14
	v_mul_f32_e32 v16, v15, v14
	v_fma_f32 v17, -v13, v16, v15
	v_fmac_f32_e32 v16, v17, v14
	v_fma_f32 v13, -v13, v16, v15
	v_div_fmas_f32 v13, v13, v14, v16
	v_div_fixup_f32 v11, v13, v4, v11
	v_cvt_pk_bf16_f32 v13, v11, s0
.LBB21_93:
	s_or_b64 exec, exec, s[2:3]
	s_and_saveexec_b64 s[2:3], s[0:1]
	s_cbranch_execz .LBB21_95
; %bb.94:
	v_div_scale_f32 v11, s[4:5], v4, v4, v10
	v_rcp_f32_e32 v12, v11
	v_div_scale_f32 v14, vcc, v10, v4, v10
	v_fma_f32 v15, -v11, v12, 1.0
	v_fmac_f32_e32 v12, v15, v12
	v_mul_f32_e32 v15, v14, v12
	v_fma_f32 v16, -v11, v15, v14
	v_fmac_f32_e32 v15, v16, v12
	v_fma_f32 v11, -v11, v15, v14
	v_div_fmas_f32 v11, v11, v12, v15
	v_div_fixup_f32 v10, v11, v4, v10
	v_cvt_pk_bf16_f32 v12, v10, s0
.LBB21_95:
	s_or_b64 exec, exec, s[2:3]
	v_mov_b32_e32 v10, 0
	v_mov_b32_e32 v11, 0
	s_and_saveexec_b64 s[2:3], s[0:1]
	s_cbranch_execz .LBB21_97
; %bb.96:
	v_div_scale_f32 v11, s[4:5], v4, v4, v9
	v_rcp_f32_e32 v14, v11
	v_div_scale_f32 v15, vcc, v9, v4, v9
	v_fma_f32 v16, -v11, v14, 1.0
	v_fmac_f32_e32 v14, v16, v14
	v_mul_f32_e32 v16, v15, v14
	v_fma_f32 v17, -v11, v16, v15
	v_fmac_f32_e32 v16, v17, v14
	v_fma_f32 v11, -v11, v16, v15
	v_div_fmas_f32 v11, v11, v14, v16
	v_div_fixup_f32 v9, v11, v4, v9
	v_cvt_pk_bf16_f32 v11, v9, s0
.LBB21_97:
	s_or_b64 exec, exec, s[2:3]
	s_and_saveexec_b64 s[2:3], s[0:1]
	s_cbranch_execz .LBB21_99
; %bb.98:
	v_div_scale_f32 v9, s[4:5], v4, v4, v8
	v_rcp_f32_e32 v10, v9
	v_div_scale_f32 v14, vcc, v8, v4, v8
	v_fma_f32 v15, -v9, v10, 1.0
	v_fmac_f32_e32 v10, v15, v10
	v_mul_f32_e32 v15, v14, v10
	v_fma_f32 v16, -v9, v15, v14
	v_fmac_f32_e32 v15, v16, v10
	v_fma_f32 v9, -v9, v15, v14
	v_div_fmas_f32 v9, v9, v10, v15
	v_div_fixup_f32 v8, v9, v4, v8
	v_cvt_pk_bf16_f32 v10, v8, s0
.LBB21_99:
	s_or_b64 exec, exec, s[2:3]
	s_mov_b32 s2, 0x5040100
	v_add_u32_e32 v0, 0x380, v0
	v_perm_b32 v9, v10, v11, s2
	v_perm_b32 v8, v12, v13, s2
	v_cmp_gt_u32_e32 vcc, s10, v0
	global_store_dwordx2 v[2:3], v[8:9], off offset:1536
	s_and_b64 exec, exec, vcc
	s_cbranch_execz .LBB21_109
; %bb.100:
	v_mov_b32_e32 v0, 0
	v_mov_b32_e32 v8, 0
	s_and_saveexec_b64 s[2:3], s[0:1]
	s_cbranch_execz .LBB21_102
; %bb.101:
	v_div_scale_f32 v8, s[4:5], v4, v4, v7
	v_rcp_f32_e32 v9, v8
	v_div_scale_f32 v10, vcc, v7, v4, v7
	v_fma_f32 v11, -v8, v9, 1.0
	v_fmac_f32_e32 v9, v11, v9
	v_mul_f32_e32 v11, v10, v9
	v_fma_f32 v12, -v8, v11, v10
	v_fmac_f32_e32 v11, v12, v9
	v_fma_f32 v8, -v8, v11, v10
	v_div_fmas_f32 v8, v8, v9, v11
	v_div_fixup_f32 v7, v8, v4, v7
	v_cvt_pk_bf16_f32 v8, v7, s0
.LBB21_102:
	s_or_b64 exec, exec, s[2:3]
	s_and_saveexec_b64 s[2:3], s[0:1]
	s_cbranch_execz .LBB21_104
; %bb.103:
	v_div_scale_f32 v0, s[4:5], v4, v4, v6
	v_rcp_f32_e32 v7, v0
	v_div_scale_f32 v9, vcc, v6, v4, v6
	v_fma_f32 v10, -v0, v7, 1.0
	v_fmac_f32_e32 v7, v10, v7
	v_mul_f32_e32 v10, v9, v7
	v_fma_f32 v11, -v0, v10, v9
	v_fmac_f32_e32 v10, v11, v7
	v_fma_f32 v0, -v0, v10, v9
	v_div_fmas_f32 v0, v0, v7, v10
	v_div_fixup_f32 v0, v0, v4, v6
	v_cvt_pk_bf16_f32 v0, v0, s0
.LBB21_104:
	s_or_b64 exec, exec, s[2:3]
	v_mov_b32_e32 v6, 0
	v_mov_b32_e32 v7, 0
	s_and_saveexec_b64 s[2:3], s[0:1]
	s_cbranch_execz .LBB21_106
; %bb.105:
	v_div_scale_f32 v7, s[4:5], v4, v4, v5
	v_rcp_f32_e32 v9, v7
	v_div_scale_f32 v10, vcc, v5, v4, v5
	v_fma_f32 v11, -v7, v9, 1.0
	v_fmac_f32_e32 v9, v11, v9
	v_mul_f32_e32 v11, v10, v9
	v_fma_f32 v12, -v7, v11, v10
	v_fmac_f32_e32 v11, v12, v9
	v_fma_f32 v7, -v7, v11, v10
	v_div_fmas_f32 v7, v7, v9, v11
	v_div_fixup_f32 v5, v7, v4, v5
	v_cvt_pk_bf16_f32 v7, v5, s0
.LBB21_106:
	s_or_b64 exec, exec, s[2:3]
	s_and_saveexec_b64 s[2:3], s[0:1]
	s_cbranch_execz .LBB21_108
; %bb.107:
	v_div_scale_f32 v5, s[0:1], v4, v4, v1
	v_rcp_f32_e32 v6, v5
	v_div_scale_f32 v9, vcc, v1, v4, v1
	v_fma_f32 v10, -v5, v6, 1.0
	v_fmac_f32_e32 v6, v10, v6
	v_mul_f32_e32 v10, v9, v6
	v_fma_f32 v11, -v5, v10, v9
	v_fmac_f32_e32 v10, v11, v6
	v_fma_f32 v5, -v5, v10, v9
	v_div_fmas_f32 v5, v5, v6, v10
	v_div_fixup_f32 v1, v5, v4, v1
	v_cvt_pk_bf16_f32 v6, v1, s0
.LBB21_108:
	s_or_b64 exec, exec, s[2:3]
	s_mov_b32 s0, 0x5040100
	v_perm_b32 v1, v6, v7, s0
	v_perm_b32 v0, v0, v8, s0
	global_store_dwordx2 v[2:3], v[0:1], off offset:1792
.LBB21_109:
	s_endpgm
	.section	.rodata,"a",@progbits
	.p2align	6, 0x0
	.amdhsa_kernel _Z34scaled_masked_softmax_warp_forwardI14__hip_bfloat16S0_fLi10EEvPT0_PKT_PKhT1_iii
		.amdhsa_group_segment_fixed_size 0
		.amdhsa_private_segment_fixed_size 0
		.amdhsa_kernarg_size 296
		.amdhsa_user_sgpr_count 2
		.amdhsa_user_sgpr_dispatch_ptr 0
		.amdhsa_user_sgpr_queue_ptr 0
		.amdhsa_user_sgpr_kernarg_segment_ptr 1
		.amdhsa_user_sgpr_dispatch_id 0
		.amdhsa_user_sgpr_kernarg_preload_length 0
		.amdhsa_user_sgpr_kernarg_preload_offset 0
		.amdhsa_user_sgpr_private_segment_size 0
		.amdhsa_uses_dynamic_stack 0
		.amdhsa_enable_private_segment 0
		.amdhsa_system_sgpr_workgroup_id_x 1
		.amdhsa_system_sgpr_workgroup_id_y 1
		.amdhsa_system_sgpr_workgroup_id_z 1
		.amdhsa_system_sgpr_workgroup_info 0
		.amdhsa_system_vgpr_workitem_id 1
		.amdhsa_next_free_vgpr 50
		.amdhsa_next_free_sgpr 19
		.amdhsa_accum_offset 52
		.amdhsa_reserve_vcc 1
		.amdhsa_float_round_mode_32 0
		.amdhsa_float_round_mode_16_64 0
		.amdhsa_float_denorm_mode_32 3
		.amdhsa_float_denorm_mode_16_64 3
		.amdhsa_dx10_clamp 1
		.amdhsa_ieee_mode 1
		.amdhsa_fp16_overflow 0
		.amdhsa_tg_split 0
		.amdhsa_exception_fp_ieee_invalid_op 0
		.amdhsa_exception_fp_denorm_src 0
		.amdhsa_exception_fp_ieee_div_zero 0
		.amdhsa_exception_fp_ieee_overflow 0
		.amdhsa_exception_fp_ieee_underflow 0
		.amdhsa_exception_fp_ieee_inexact 0
		.amdhsa_exception_int_div_zero 0
	.end_amdhsa_kernel
	.section	.text._Z34scaled_masked_softmax_warp_forwardI14__hip_bfloat16S0_fLi10EEvPT0_PKT_PKhT1_iii,"axG",@progbits,_Z34scaled_masked_softmax_warp_forwardI14__hip_bfloat16S0_fLi10EEvPT0_PKT_PKhT1_iii,comdat
.Lfunc_end21:
	.size	_Z34scaled_masked_softmax_warp_forwardI14__hip_bfloat16S0_fLi10EEvPT0_PKT_PKhT1_iii, .Lfunc_end21-_Z34scaled_masked_softmax_warp_forwardI14__hip_bfloat16S0_fLi10EEvPT0_PKT_PKhT1_iii
                                        ; -- End function
	.set _Z34scaled_masked_softmax_warp_forwardI14__hip_bfloat16S0_fLi10EEvPT0_PKT_PKhT1_iii.num_vgpr, 50
	.set _Z34scaled_masked_softmax_warp_forwardI14__hip_bfloat16S0_fLi10EEvPT0_PKT_PKhT1_iii.num_agpr, 0
	.set _Z34scaled_masked_softmax_warp_forwardI14__hip_bfloat16S0_fLi10EEvPT0_PKT_PKhT1_iii.numbered_sgpr, 19
	.set _Z34scaled_masked_softmax_warp_forwardI14__hip_bfloat16S0_fLi10EEvPT0_PKT_PKhT1_iii.num_named_barrier, 0
	.set _Z34scaled_masked_softmax_warp_forwardI14__hip_bfloat16S0_fLi10EEvPT0_PKT_PKhT1_iii.private_seg_size, 0
	.set _Z34scaled_masked_softmax_warp_forwardI14__hip_bfloat16S0_fLi10EEvPT0_PKT_PKhT1_iii.uses_vcc, 1
	.set _Z34scaled_masked_softmax_warp_forwardI14__hip_bfloat16S0_fLi10EEvPT0_PKT_PKhT1_iii.uses_flat_scratch, 0
	.set _Z34scaled_masked_softmax_warp_forwardI14__hip_bfloat16S0_fLi10EEvPT0_PKT_PKhT1_iii.has_dyn_sized_stack, 0
	.set _Z34scaled_masked_softmax_warp_forwardI14__hip_bfloat16S0_fLi10EEvPT0_PKT_PKhT1_iii.has_recursion, 0
	.set _Z34scaled_masked_softmax_warp_forwardI14__hip_bfloat16S0_fLi10EEvPT0_PKT_PKhT1_iii.has_indirect_call, 0
	.section	.AMDGPU.csdata,"",@progbits
; Kernel info:
; codeLenInByte = 9944
; TotalNumSgprs: 25
; NumVgprs: 50
; NumAgprs: 0
; TotalNumVgprs: 50
; ScratchSize: 0
; MemoryBound: 0
; FloatMode: 240
; IeeeMode: 1
; LDSByteSize: 0 bytes/workgroup (compile time only)
; SGPRBlocks: 3
; VGPRBlocks: 6
; NumSGPRsForWavesPerEU: 25
; NumVGPRsForWavesPerEU: 50
; AccumOffset: 52
; Occupancy: 8
; WaveLimiterHint : 0
; COMPUTE_PGM_RSRC2:SCRATCH_EN: 0
; COMPUTE_PGM_RSRC2:USER_SGPR: 2
; COMPUTE_PGM_RSRC2:TRAP_HANDLER: 0
; COMPUTE_PGM_RSRC2:TGID_X_EN: 1
; COMPUTE_PGM_RSRC2:TGID_Y_EN: 1
; COMPUTE_PGM_RSRC2:TGID_Z_EN: 1
; COMPUTE_PGM_RSRC2:TIDIG_COMP_CNT: 1
; COMPUTE_PGM_RSRC3_GFX90A:ACCUM_OFFSET: 12
; COMPUTE_PGM_RSRC3_GFX90A:TG_SPLIT: 0
	.section	.AMDGPU.gpr_maximums,"",@progbits
	.set amdgpu.max_num_vgpr, 0
	.set amdgpu.max_num_agpr, 0
	.set amdgpu.max_num_sgpr, 0
	.section	.AMDGPU.csdata,"",@progbits
	.type	__hip_cuid_4e64aa4e3b107a46,@object ; @__hip_cuid_4e64aa4e3b107a46
	.section	.bss,"aw",@nobits
	.globl	__hip_cuid_4e64aa4e3b107a46
__hip_cuid_4e64aa4e3b107a46:
	.byte	0                               ; 0x0
	.size	__hip_cuid_4e64aa4e3b107a46, 1

	.ident	"AMD clang version 22.0.0git (https://github.com/RadeonOpenCompute/llvm-project roc-7.2.4 26084 f58b06dce1f9c15707c5f808fd002e18c2accf7e)"
	.section	".note.GNU-stack","",@progbits
	.addrsig
	.addrsig_sym __hip_cuid_4e64aa4e3b107a46
	.amdgpu_metadata
---
amdhsa.kernels:
  - .agpr_count:     0
    .args:
      - .address_space:  global
        .offset:         0
        .size:           8
        .value_kind:     global_buffer
      - .address_space:  global
        .offset:         8
        .size:           8
        .value_kind:     global_buffer
      - .address_space:  global
        .offset:         16
        .size:           8
        .value_kind:     global_buffer
      - .offset:         24
        .size:           4
        .value_kind:     by_value
      - .offset:         28
        .size:           4
        .value_kind:     by_value
      - .offset:         32
        .size:           4
        .value_kind:     by_value
      - .offset:         36
        .size:           4
        .value_kind:     by_value
      - .offset:         40
        .size:           4
        .value_kind:     hidden_block_count_x
      - .offset:         44
        .size:           4
        .value_kind:     hidden_block_count_y
      - .offset:         48
        .size:           4
        .value_kind:     hidden_block_count_z
      - .offset:         52
        .size:           2
        .value_kind:     hidden_group_size_x
      - .offset:         54
        .size:           2
        .value_kind:     hidden_group_size_y
      - .offset:         56
        .size:           2
        .value_kind:     hidden_group_size_z
      - .offset:         58
        .size:           2
        .value_kind:     hidden_remainder_x
      - .offset:         60
        .size:           2
        .value_kind:     hidden_remainder_y
      - .offset:         62
        .size:           2
        .value_kind:     hidden_remainder_z
      - .offset:         80
        .size:           8
        .value_kind:     hidden_global_offset_x
      - .offset:         88
        .size:           8
        .value_kind:     hidden_global_offset_y
      - .offset:         96
        .size:           8
        .value_kind:     hidden_global_offset_z
      - .offset:         104
        .size:           2
        .value_kind:     hidden_grid_dims
    .group_segment_fixed_size: 0
    .kernarg_segment_align: 8
    .kernarg_segment_size: 296
    .language:       OpenCL C
    .language_version:
      - 2
      - 0
    .max_flat_workgroup_size: 1024
    .name:           _Z34scaled_masked_softmax_warp_forwardI6__halfS0_fLi0EEvPT0_PKT_PKhT1_iii
    .private_segment_fixed_size: 0
    .sgpr_count:     19
    .sgpr_spill_count: 0
    .symbol:         _Z34scaled_masked_softmax_warp_forwardI6__halfS0_fLi0EEvPT0_PKT_PKhT1_iii.kd
    .uniform_work_group_size: 1
    .uses_dynamic_stack: false
    .vgpr_count:     12
    .vgpr_spill_count: 0
    .wavefront_size: 64
  - .agpr_count:     0
    .args:
      - .address_space:  global
        .offset:         0
        .size:           8
        .value_kind:     global_buffer
      - .address_space:  global
        .offset:         8
        .size:           8
        .value_kind:     global_buffer
      - .address_space:  global
        .offset:         16
        .size:           8
        .value_kind:     global_buffer
      - .offset:         24
        .size:           4
        .value_kind:     by_value
      - .offset:         28
        .size:           4
        .value_kind:     by_value
      - .offset:         32
        .size:           4
        .value_kind:     by_value
      - .offset:         36
        .size:           4
        .value_kind:     by_value
      - .offset:         40
        .size:           4
        .value_kind:     hidden_block_count_x
      - .offset:         44
        .size:           4
        .value_kind:     hidden_block_count_y
      - .offset:         48
        .size:           4
        .value_kind:     hidden_block_count_z
      - .offset:         52
        .size:           2
        .value_kind:     hidden_group_size_x
      - .offset:         54
        .size:           2
        .value_kind:     hidden_group_size_y
      - .offset:         56
        .size:           2
        .value_kind:     hidden_group_size_z
      - .offset:         58
        .size:           2
        .value_kind:     hidden_remainder_x
      - .offset:         60
        .size:           2
        .value_kind:     hidden_remainder_y
      - .offset:         62
        .size:           2
        .value_kind:     hidden_remainder_z
      - .offset:         80
        .size:           8
        .value_kind:     hidden_global_offset_x
      - .offset:         88
        .size:           8
        .value_kind:     hidden_global_offset_y
      - .offset:         96
        .size:           8
        .value_kind:     hidden_global_offset_z
      - .offset:         104
        .size:           2
        .value_kind:     hidden_grid_dims
    .group_segment_fixed_size: 0
    .kernarg_segment_align: 8
    .kernarg_segment_size: 296
    .language:       OpenCL C
    .language_version:
      - 2
      - 0
    .max_flat_workgroup_size: 1024
    .name:           _Z34scaled_masked_softmax_warp_forwardI6__halfS0_fLi1EEvPT0_PKT_PKhT1_iii
    .private_segment_fixed_size: 0
    .sgpr_count:     24
    .sgpr_spill_count: 0
    .symbol:         _Z34scaled_masked_softmax_warp_forwardI6__halfS0_fLi1EEvPT0_PKT_PKhT1_iii.kd
    .uniform_work_group_size: 1
    .uses_dynamic_stack: false
    .vgpr_count:     14
    .vgpr_spill_count: 0
    .wavefront_size: 64
  - .agpr_count:     0
    .args:
      - .address_space:  global
        .offset:         0
        .size:           8
        .value_kind:     global_buffer
      - .address_space:  global
        .offset:         8
        .size:           8
        .value_kind:     global_buffer
      - .address_space:  global
        .offset:         16
        .size:           8
        .value_kind:     global_buffer
      - .offset:         24
        .size:           4
        .value_kind:     by_value
      - .offset:         28
        .size:           4
        .value_kind:     by_value
      - .offset:         32
        .size:           4
        .value_kind:     by_value
      - .offset:         36
        .size:           4
        .value_kind:     by_value
      - .offset:         40
        .size:           4
        .value_kind:     hidden_block_count_x
      - .offset:         44
        .size:           4
        .value_kind:     hidden_block_count_y
      - .offset:         48
        .size:           4
        .value_kind:     hidden_block_count_z
      - .offset:         52
        .size:           2
        .value_kind:     hidden_group_size_x
      - .offset:         54
        .size:           2
        .value_kind:     hidden_group_size_y
      - .offset:         56
        .size:           2
        .value_kind:     hidden_group_size_z
      - .offset:         58
        .size:           2
        .value_kind:     hidden_remainder_x
      - .offset:         60
        .size:           2
        .value_kind:     hidden_remainder_y
      - .offset:         62
        .size:           2
        .value_kind:     hidden_remainder_z
      - .offset:         80
        .size:           8
        .value_kind:     hidden_global_offset_x
      - .offset:         88
        .size:           8
        .value_kind:     hidden_global_offset_y
      - .offset:         96
        .size:           8
        .value_kind:     hidden_global_offset_z
      - .offset:         104
        .size:           2
        .value_kind:     hidden_grid_dims
    .group_segment_fixed_size: 0
    .kernarg_segment_align: 8
    .kernarg_segment_size: 296
    .language:       OpenCL C
    .language_version:
      - 2
      - 0
    .max_flat_workgroup_size: 1024
    .name:           _Z34scaled_masked_softmax_warp_forwardI6__halfS0_fLi2EEvPT0_PKT_PKhT1_iii
    .private_segment_fixed_size: 0
    .sgpr_count:     24
    .sgpr_spill_count: 0
    .symbol:         _Z34scaled_masked_softmax_warp_forwardI6__halfS0_fLi2EEvPT0_PKT_PKhT1_iii.kd
    .uniform_work_group_size: 1
    .uses_dynamic_stack: false
    .vgpr_count:     15
    .vgpr_spill_count: 0
    .wavefront_size: 64
  - .agpr_count:     0
    .args:
      - .address_space:  global
        .offset:         0
        .size:           8
        .value_kind:     global_buffer
      - .address_space:  global
        .offset:         8
        .size:           8
        .value_kind:     global_buffer
      - .address_space:  global
        .offset:         16
        .size:           8
        .value_kind:     global_buffer
      - .offset:         24
        .size:           4
        .value_kind:     by_value
      - .offset:         28
        .size:           4
        .value_kind:     by_value
      - .offset:         32
        .size:           4
        .value_kind:     by_value
      - .offset:         36
        .size:           4
        .value_kind:     by_value
      - .offset:         40
        .size:           4
        .value_kind:     hidden_block_count_x
      - .offset:         44
        .size:           4
        .value_kind:     hidden_block_count_y
      - .offset:         48
        .size:           4
        .value_kind:     hidden_block_count_z
      - .offset:         52
        .size:           2
        .value_kind:     hidden_group_size_x
      - .offset:         54
        .size:           2
        .value_kind:     hidden_group_size_y
      - .offset:         56
        .size:           2
        .value_kind:     hidden_group_size_z
      - .offset:         58
        .size:           2
        .value_kind:     hidden_remainder_x
      - .offset:         60
        .size:           2
        .value_kind:     hidden_remainder_y
      - .offset:         62
        .size:           2
        .value_kind:     hidden_remainder_z
      - .offset:         80
        .size:           8
        .value_kind:     hidden_global_offset_x
      - .offset:         88
        .size:           8
        .value_kind:     hidden_global_offset_y
      - .offset:         96
        .size:           8
        .value_kind:     hidden_global_offset_z
      - .offset:         104
        .size:           2
        .value_kind:     hidden_grid_dims
    .group_segment_fixed_size: 0
    .kernarg_segment_align: 8
    .kernarg_segment_size: 296
    .language:       OpenCL C
    .language_version:
      - 2
      - 0
    .max_flat_workgroup_size: 1024
    .name:           _Z34scaled_masked_softmax_warp_forwardI6__halfS0_fLi3EEvPT0_PKT_PKhT1_iii
    .private_segment_fixed_size: 0
    .sgpr_count:     24
    .sgpr_spill_count: 0
    .symbol:         _Z34scaled_masked_softmax_warp_forwardI6__halfS0_fLi3EEvPT0_PKT_PKhT1_iii.kd
    .uniform_work_group_size: 1
    .uses_dynamic_stack: false
    .vgpr_count:     16
    .vgpr_spill_count: 0
    .wavefront_size: 64
  - .agpr_count:     0
    .args:
      - .address_space:  global
        .offset:         0
        .size:           8
        .value_kind:     global_buffer
      - .address_space:  global
        .offset:         8
        .size:           8
        .value_kind:     global_buffer
      - .address_space:  global
        .offset:         16
        .size:           8
        .value_kind:     global_buffer
      - .offset:         24
        .size:           4
        .value_kind:     by_value
      - .offset:         28
        .size:           4
        .value_kind:     by_value
      - .offset:         32
        .size:           4
        .value_kind:     by_value
      - .offset:         36
        .size:           4
        .value_kind:     by_value
      - .offset:         40
        .size:           4
        .value_kind:     hidden_block_count_x
      - .offset:         44
        .size:           4
        .value_kind:     hidden_block_count_y
      - .offset:         48
        .size:           4
        .value_kind:     hidden_block_count_z
      - .offset:         52
        .size:           2
        .value_kind:     hidden_group_size_x
      - .offset:         54
        .size:           2
        .value_kind:     hidden_group_size_y
      - .offset:         56
        .size:           2
        .value_kind:     hidden_group_size_z
      - .offset:         58
        .size:           2
        .value_kind:     hidden_remainder_x
      - .offset:         60
        .size:           2
        .value_kind:     hidden_remainder_y
      - .offset:         62
        .size:           2
        .value_kind:     hidden_remainder_z
      - .offset:         80
        .size:           8
        .value_kind:     hidden_global_offset_x
      - .offset:         88
        .size:           8
        .value_kind:     hidden_global_offset_y
      - .offset:         96
        .size:           8
        .value_kind:     hidden_global_offset_z
      - .offset:         104
        .size:           2
        .value_kind:     hidden_grid_dims
    .group_segment_fixed_size: 0
    .kernarg_segment_align: 8
    .kernarg_segment_size: 296
    .language:       OpenCL C
    .language_version:
      - 2
      - 0
    .max_flat_workgroup_size: 1024
    .name:           _Z34scaled_masked_softmax_warp_forwardI6__halfS0_fLi4EEvPT0_PKT_PKhT1_iii
    .private_segment_fixed_size: 0
    .sgpr_count:     24
    .sgpr_spill_count: 0
    .symbol:         _Z34scaled_masked_softmax_warp_forwardI6__halfS0_fLi4EEvPT0_PKT_PKhT1_iii.kd
    .uniform_work_group_size: 1
    .uses_dynamic_stack: false
    .vgpr_count:     16
    .vgpr_spill_count: 0
    .wavefront_size: 64
  - .agpr_count:     0
    .args:
      - .address_space:  global
        .offset:         0
        .size:           8
        .value_kind:     global_buffer
      - .address_space:  global
        .offset:         8
        .size:           8
        .value_kind:     global_buffer
      - .address_space:  global
        .offset:         16
        .size:           8
        .value_kind:     global_buffer
      - .offset:         24
        .size:           4
        .value_kind:     by_value
      - .offset:         28
        .size:           4
        .value_kind:     by_value
      - .offset:         32
        .size:           4
        .value_kind:     by_value
      - .offset:         36
        .size:           4
        .value_kind:     by_value
      - .offset:         40
        .size:           4
        .value_kind:     hidden_block_count_x
      - .offset:         44
        .size:           4
        .value_kind:     hidden_block_count_y
      - .offset:         48
        .size:           4
        .value_kind:     hidden_block_count_z
      - .offset:         52
        .size:           2
        .value_kind:     hidden_group_size_x
      - .offset:         54
        .size:           2
        .value_kind:     hidden_group_size_y
      - .offset:         56
        .size:           2
        .value_kind:     hidden_group_size_z
      - .offset:         58
        .size:           2
        .value_kind:     hidden_remainder_x
      - .offset:         60
        .size:           2
        .value_kind:     hidden_remainder_y
      - .offset:         62
        .size:           2
        .value_kind:     hidden_remainder_z
      - .offset:         80
        .size:           8
        .value_kind:     hidden_global_offset_x
      - .offset:         88
        .size:           8
        .value_kind:     hidden_global_offset_y
      - .offset:         96
        .size:           8
        .value_kind:     hidden_global_offset_z
      - .offset:         104
        .size:           2
        .value_kind:     hidden_grid_dims
    .group_segment_fixed_size: 0
    .kernarg_segment_align: 8
    .kernarg_segment_size: 296
    .language:       OpenCL C
    .language_version:
      - 2
      - 0
    .max_flat_workgroup_size: 1024
    .name:           _Z34scaled_masked_softmax_warp_forwardI6__halfS0_fLi5EEvPT0_PKT_PKhT1_iii
    .private_segment_fixed_size: 0
    .sgpr_count:     24
    .sgpr_spill_count: 0
    .symbol:         _Z34scaled_masked_softmax_warp_forwardI6__halfS0_fLi5EEvPT0_PKT_PKhT1_iii.kd
    .uniform_work_group_size: 1
    .uses_dynamic_stack: false
    .vgpr_count:     17
    .vgpr_spill_count: 0
    .wavefront_size: 64
  - .agpr_count:     0
    .args:
      - .address_space:  global
        .offset:         0
        .size:           8
        .value_kind:     global_buffer
      - .address_space:  global
        .offset:         8
        .size:           8
        .value_kind:     global_buffer
      - .address_space:  global
        .offset:         16
        .size:           8
        .value_kind:     global_buffer
      - .offset:         24
        .size:           4
        .value_kind:     by_value
      - .offset:         28
        .size:           4
        .value_kind:     by_value
      - .offset:         32
        .size:           4
        .value_kind:     by_value
      - .offset:         36
        .size:           4
        .value_kind:     by_value
      - .offset:         40
        .size:           4
        .value_kind:     hidden_block_count_x
      - .offset:         44
        .size:           4
        .value_kind:     hidden_block_count_y
      - .offset:         48
        .size:           4
        .value_kind:     hidden_block_count_z
      - .offset:         52
        .size:           2
        .value_kind:     hidden_group_size_x
      - .offset:         54
        .size:           2
        .value_kind:     hidden_group_size_y
      - .offset:         56
        .size:           2
        .value_kind:     hidden_group_size_z
      - .offset:         58
        .size:           2
        .value_kind:     hidden_remainder_x
      - .offset:         60
        .size:           2
        .value_kind:     hidden_remainder_y
      - .offset:         62
        .size:           2
        .value_kind:     hidden_remainder_z
      - .offset:         80
        .size:           8
        .value_kind:     hidden_global_offset_x
      - .offset:         88
        .size:           8
        .value_kind:     hidden_global_offset_y
      - .offset:         96
        .size:           8
        .value_kind:     hidden_global_offset_z
      - .offset:         104
        .size:           2
        .value_kind:     hidden_grid_dims
    .group_segment_fixed_size: 0
    .kernarg_segment_align: 8
    .kernarg_segment_size: 296
    .language:       OpenCL C
    .language_version:
      - 2
      - 0
    .max_flat_workgroup_size: 1024
    .name:           _Z34scaled_masked_softmax_warp_forwardI6__halfS0_fLi6EEvPT0_PKT_PKhT1_iii
    .private_segment_fixed_size: 0
    .sgpr_count:     25
    .sgpr_spill_count: 0
    .symbol:         _Z34scaled_masked_softmax_warp_forwardI6__halfS0_fLi6EEvPT0_PKT_PKhT1_iii.kd
    .uniform_work_group_size: 1
    .uses_dynamic_stack: false
    .vgpr_count:     21
    .vgpr_spill_count: 0
    .wavefront_size: 64
  - .agpr_count:     0
    .args:
      - .address_space:  global
        .offset:         0
        .size:           8
        .value_kind:     global_buffer
      - .address_space:  global
        .offset:         8
        .size:           8
        .value_kind:     global_buffer
      - .address_space:  global
        .offset:         16
        .size:           8
        .value_kind:     global_buffer
      - .offset:         24
        .size:           4
        .value_kind:     by_value
      - .offset:         28
        .size:           4
        .value_kind:     by_value
      - .offset:         32
        .size:           4
        .value_kind:     by_value
      - .offset:         36
        .size:           4
        .value_kind:     by_value
      - .offset:         40
        .size:           4
        .value_kind:     hidden_block_count_x
      - .offset:         44
        .size:           4
        .value_kind:     hidden_block_count_y
      - .offset:         48
        .size:           4
        .value_kind:     hidden_block_count_z
      - .offset:         52
        .size:           2
        .value_kind:     hidden_group_size_x
      - .offset:         54
        .size:           2
        .value_kind:     hidden_group_size_y
      - .offset:         56
        .size:           2
        .value_kind:     hidden_group_size_z
      - .offset:         58
        .size:           2
        .value_kind:     hidden_remainder_x
      - .offset:         60
        .size:           2
        .value_kind:     hidden_remainder_y
      - .offset:         62
        .size:           2
        .value_kind:     hidden_remainder_z
      - .offset:         80
        .size:           8
        .value_kind:     hidden_global_offset_x
      - .offset:         88
        .size:           8
        .value_kind:     hidden_global_offset_y
      - .offset:         96
        .size:           8
        .value_kind:     hidden_global_offset_z
      - .offset:         104
        .size:           2
        .value_kind:     hidden_grid_dims
    .group_segment_fixed_size: 0
    .kernarg_segment_align: 8
    .kernarg_segment_size: 296
    .language:       OpenCL C
    .language_version:
      - 2
      - 0
    .max_flat_workgroup_size: 1024
    .name:           _Z34scaled_masked_softmax_warp_forwardI6__halfS0_fLi7EEvPT0_PKT_PKhT1_iii
    .private_segment_fixed_size: 0
    .sgpr_count:     24
    .sgpr_spill_count: 0
    .symbol:         _Z34scaled_masked_softmax_warp_forwardI6__halfS0_fLi7EEvPT0_PKT_PKhT1_iii.kd
    .uniform_work_group_size: 1
    .uses_dynamic_stack: false
    .vgpr_count:     26
    .vgpr_spill_count: 0
    .wavefront_size: 64
  - .agpr_count:     0
    .args:
      - .address_space:  global
        .offset:         0
        .size:           8
        .value_kind:     global_buffer
      - .address_space:  global
        .offset:         8
        .size:           8
        .value_kind:     global_buffer
      - .address_space:  global
        .offset:         16
        .size:           8
        .value_kind:     global_buffer
      - .offset:         24
        .size:           4
        .value_kind:     by_value
      - .offset:         28
        .size:           4
        .value_kind:     by_value
      - .offset:         32
        .size:           4
        .value_kind:     by_value
      - .offset:         36
        .size:           4
        .value_kind:     by_value
      - .offset:         40
        .size:           4
        .value_kind:     hidden_block_count_x
      - .offset:         44
        .size:           4
        .value_kind:     hidden_block_count_y
      - .offset:         48
        .size:           4
        .value_kind:     hidden_block_count_z
      - .offset:         52
        .size:           2
        .value_kind:     hidden_group_size_x
      - .offset:         54
        .size:           2
        .value_kind:     hidden_group_size_y
      - .offset:         56
        .size:           2
        .value_kind:     hidden_group_size_z
      - .offset:         58
        .size:           2
        .value_kind:     hidden_remainder_x
      - .offset:         60
        .size:           2
        .value_kind:     hidden_remainder_y
      - .offset:         62
        .size:           2
        .value_kind:     hidden_remainder_z
      - .offset:         80
        .size:           8
        .value_kind:     hidden_global_offset_x
      - .offset:         88
        .size:           8
        .value_kind:     hidden_global_offset_y
      - .offset:         96
        .size:           8
        .value_kind:     hidden_global_offset_z
      - .offset:         104
        .size:           2
        .value_kind:     hidden_grid_dims
    .group_segment_fixed_size: 0
    .kernarg_segment_align: 8
    .kernarg_segment_size: 296
    .language:       OpenCL C
    .language_version:
      - 2
      - 0
    .max_flat_workgroup_size: 1024
    .name:           _Z34scaled_masked_softmax_warp_forwardI6__halfS0_fLi8EEvPT0_PKT_PKhT1_iii
    .private_segment_fixed_size: 0
    .sgpr_count:     25
    .sgpr_spill_count: 0
    .symbol:         _Z34scaled_masked_softmax_warp_forwardI6__halfS0_fLi8EEvPT0_PKT_PKhT1_iii.kd
    .uniform_work_group_size: 1
    .uses_dynamic_stack: false
    .vgpr_count:     23
    .vgpr_spill_count: 0
    .wavefront_size: 64
  - .agpr_count:     0
    .args:
      - .address_space:  global
        .offset:         0
        .size:           8
        .value_kind:     global_buffer
      - .address_space:  global
        .offset:         8
        .size:           8
        .value_kind:     global_buffer
      - .address_space:  global
        .offset:         16
        .size:           8
        .value_kind:     global_buffer
      - .offset:         24
        .size:           4
        .value_kind:     by_value
      - .offset:         28
        .size:           4
        .value_kind:     by_value
      - .offset:         32
        .size:           4
        .value_kind:     by_value
      - .offset:         36
        .size:           4
        .value_kind:     by_value
      - .offset:         40
        .size:           4
        .value_kind:     hidden_block_count_x
      - .offset:         44
        .size:           4
        .value_kind:     hidden_block_count_y
      - .offset:         48
        .size:           4
        .value_kind:     hidden_block_count_z
      - .offset:         52
        .size:           2
        .value_kind:     hidden_group_size_x
      - .offset:         54
        .size:           2
        .value_kind:     hidden_group_size_y
      - .offset:         56
        .size:           2
        .value_kind:     hidden_group_size_z
      - .offset:         58
        .size:           2
        .value_kind:     hidden_remainder_x
      - .offset:         60
        .size:           2
        .value_kind:     hidden_remainder_y
      - .offset:         62
        .size:           2
        .value_kind:     hidden_remainder_z
      - .offset:         80
        .size:           8
        .value_kind:     hidden_global_offset_x
      - .offset:         88
        .size:           8
        .value_kind:     hidden_global_offset_y
      - .offset:         96
        .size:           8
        .value_kind:     hidden_global_offset_z
      - .offset:         104
        .size:           2
        .value_kind:     hidden_grid_dims
    .group_segment_fixed_size: 0
    .kernarg_segment_align: 8
    .kernarg_segment_size: 296
    .language:       OpenCL C
    .language_version:
      - 2
      - 0
    .max_flat_workgroup_size: 1024
    .name:           _Z34scaled_masked_softmax_warp_forwardI6__halfS0_fLi9EEvPT0_PKT_PKhT1_iii
    .private_segment_fixed_size: 0
    .sgpr_count:     25
    .sgpr_spill_count: 0
    .symbol:         _Z34scaled_masked_softmax_warp_forwardI6__halfS0_fLi9EEvPT0_PKT_PKhT1_iii.kd
    .uniform_work_group_size: 1
    .uses_dynamic_stack: false
    .vgpr_count:     33
    .vgpr_spill_count: 0
    .wavefront_size: 64
  - .agpr_count:     0
    .args:
      - .address_space:  global
        .offset:         0
        .size:           8
        .value_kind:     global_buffer
      - .address_space:  global
        .offset:         8
        .size:           8
        .value_kind:     global_buffer
      - .address_space:  global
        .offset:         16
        .size:           8
        .value_kind:     global_buffer
      - .offset:         24
        .size:           4
        .value_kind:     by_value
      - .offset:         28
        .size:           4
        .value_kind:     by_value
      - .offset:         32
        .size:           4
        .value_kind:     by_value
      - .offset:         36
        .size:           4
        .value_kind:     by_value
      - .offset:         40
        .size:           4
        .value_kind:     hidden_block_count_x
      - .offset:         44
        .size:           4
        .value_kind:     hidden_block_count_y
      - .offset:         48
        .size:           4
        .value_kind:     hidden_block_count_z
      - .offset:         52
        .size:           2
        .value_kind:     hidden_group_size_x
      - .offset:         54
        .size:           2
        .value_kind:     hidden_group_size_y
      - .offset:         56
        .size:           2
        .value_kind:     hidden_group_size_z
      - .offset:         58
        .size:           2
        .value_kind:     hidden_remainder_x
      - .offset:         60
        .size:           2
        .value_kind:     hidden_remainder_y
      - .offset:         62
        .size:           2
        .value_kind:     hidden_remainder_z
      - .offset:         80
        .size:           8
        .value_kind:     hidden_global_offset_x
      - .offset:         88
        .size:           8
        .value_kind:     hidden_global_offset_y
      - .offset:         96
        .size:           8
        .value_kind:     hidden_global_offset_z
      - .offset:         104
        .size:           2
        .value_kind:     hidden_grid_dims
    .group_segment_fixed_size: 0
    .kernarg_segment_align: 8
    .kernarg_segment_size: 296
    .language:       OpenCL C
    .language_version:
      - 2
      - 0
    .max_flat_workgroup_size: 1024
    .name:           _Z34scaled_masked_softmax_warp_forwardI6__halfS0_fLi10EEvPT0_PKT_PKhT1_iii
    .private_segment_fixed_size: 0
    .sgpr_count:     25
    .sgpr_spill_count: 0
    .symbol:         _Z34scaled_masked_softmax_warp_forwardI6__halfS0_fLi10EEvPT0_PKT_PKhT1_iii.kd
    .uniform_work_group_size: 1
    .uses_dynamic_stack: false
    .vgpr_count:     56
    .vgpr_spill_count: 0
    .wavefront_size: 64
  - .agpr_count:     0
    .args:
      - .address_space:  global
        .offset:         0
        .size:           8
        .value_kind:     global_buffer
      - .address_space:  global
        .offset:         8
        .size:           8
        .value_kind:     global_buffer
      - .address_space:  global
        .offset:         16
        .size:           8
        .value_kind:     global_buffer
      - .offset:         24
        .size:           4
        .value_kind:     by_value
      - .offset:         28
        .size:           4
        .value_kind:     by_value
      - .offset:         32
        .size:           4
        .value_kind:     by_value
      - .offset:         36
        .size:           4
        .value_kind:     by_value
      - .offset:         40
        .size:           4
        .value_kind:     hidden_block_count_x
      - .offset:         44
        .size:           4
        .value_kind:     hidden_block_count_y
      - .offset:         48
        .size:           4
        .value_kind:     hidden_block_count_z
      - .offset:         52
        .size:           2
        .value_kind:     hidden_group_size_x
      - .offset:         54
        .size:           2
        .value_kind:     hidden_group_size_y
      - .offset:         56
        .size:           2
        .value_kind:     hidden_group_size_z
      - .offset:         58
        .size:           2
        .value_kind:     hidden_remainder_x
      - .offset:         60
        .size:           2
        .value_kind:     hidden_remainder_y
      - .offset:         62
        .size:           2
        .value_kind:     hidden_remainder_z
      - .offset:         80
        .size:           8
        .value_kind:     hidden_global_offset_x
      - .offset:         88
        .size:           8
        .value_kind:     hidden_global_offset_y
      - .offset:         96
        .size:           8
        .value_kind:     hidden_global_offset_z
      - .offset:         104
        .size:           2
        .value_kind:     hidden_grid_dims
    .group_segment_fixed_size: 0
    .kernarg_segment_align: 8
    .kernarg_segment_size: 296
    .language:       OpenCL C
    .language_version:
      - 2
      - 0
    .max_flat_workgroup_size: 1024
    .name:           _Z34scaled_masked_softmax_warp_forwardI14__hip_bfloat16S0_fLi0EEvPT0_PKT_PKhT1_iii
    .private_segment_fixed_size: 0
    .sgpr_count:     19
    .sgpr_spill_count: 0
    .symbol:         _Z34scaled_masked_softmax_warp_forwardI14__hip_bfloat16S0_fLi0EEvPT0_PKT_PKhT1_iii.kd
    .uniform_work_group_size: 1
    .uses_dynamic_stack: false
    .vgpr_count:     12
    .vgpr_spill_count: 0
    .wavefront_size: 64
  - .agpr_count:     0
    .args:
      - .address_space:  global
        .offset:         0
        .size:           8
        .value_kind:     global_buffer
      - .address_space:  global
        .offset:         8
        .size:           8
        .value_kind:     global_buffer
      - .address_space:  global
        .offset:         16
        .size:           8
        .value_kind:     global_buffer
      - .offset:         24
        .size:           4
        .value_kind:     by_value
      - .offset:         28
        .size:           4
        .value_kind:     by_value
      - .offset:         32
        .size:           4
        .value_kind:     by_value
      - .offset:         36
        .size:           4
        .value_kind:     by_value
      - .offset:         40
        .size:           4
        .value_kind:     hidden_block_count_x
      - .offset:         44
        .size:           4
        .value_kind:     hidden_block_count_y
      - .offset:         48
        .size:           4
        .value_kind:     hidden_block_count_z
      - .offset:         52
        .size:           2
        .value_kind:     hidden_group_size_x
      - .offset:         54
        .size:           2
        .value_kind:     hidden_group_size_y
      - .offset:         56
        .size:           2
        .value_kind:     hidden_group_size_z
      - .offset:         58
        .size:           2
        .value_kind:     hidden_remainder_x
      - .offset:         60
        .size:           2
        .value_kind:     hidden_remainder_y
      - .offset:         62
        .size:           2
        .value_kind:     hidden_remainder_z
      - .offset:         80
        .size:           8
        .value_kind:     hidden_global_offset_x
      - .offset:         88
        .size:           8
        .value_kind:     hidden_global_offset_y
      - .offset:         96
        .size:           8
        .value_kind:     hidden_global_offset_z
      - .offset:         104
        .size:           2
        .value_kind:     hidden_grid_dims
    .group_segment_fixed_size: 0
    .kernarg_segment_align: 8
    .kernarg_segment_size: 296
    .language:       OpenCL C
    .language_version:
      - 2
      - 0
    .max_flat_workgroup_size: 1024
    .name:           _Z34scaled_masked_softmax_warp_forwardI14__hip_bfloat16S0_fLi1EEvPT0_PKT_PKhT1_iii
    .private_segment_fixed_size: 0
    .sgpr_count:     24
    .sgpr_spill_count: 0
    .symbol:         _Z34scaled_masked_softmax_warp_forwardI14__hip_bfloat16S0_fLi1EEvPT0_PKT_PKhT1_iii.kd
    .uniform_work_group_size: 1
    .uses_dynamic_stack: false
    .vgpr_count:     14
    .vgpr_spill_count: 0
    .wavefront_size: 64
  - .agpr_count:     0
    .args:
      - .address_space:  global
        .offset:         0
        .size:           8
        .value_kind:     global_buffer
      - .address_space:  global
        .offset:         8
        .size:           8
        .value_kind:     global_buffer
      - .address_space:  global
        .offset:         16
        .size:           8
        .value_kind:     global_buffer
      - .offset:         24
        .size:           4
        .value_kind:     by_value
      - .offset:         28
        .size:           4
        .value_kind:     by_value
      - .offset:         32
        .size:           4
        .value_kind:     by_value
      - .offset:         36
        .size:           4
        .value_kind:     by_value
      - .offset:         40
        .size:           4
        .value_kind:     hidden_block_count_x
      - .offset:         44
        .size:           4
        .value_kind:     hidden_block_count_y
      - .offset:         48
        .size:           4
        .value_kind:     hidden_block_count_z
      - .offset:         52
        .size:           2
        .value_kind:     hidden_group_size_x
      - .offset:         54
        .size:           2
        .value_kind:     hidden_group_size_y
      - .offset:         56
        .size:           2
        .value_kind:     hidden_group_size_z
      - .offset:         58
        .size:           2
        .value_kind:     hidden_remainder_x
      - .offset:         60
        .size:           2
        .value_kind:     hidden_remainder_y
      - .offset:         62
        .size:           2
        .value_kind:     hidden_remainder_z
      - .offset:         80
        .size:           8
        .value_kind:     hidden_global_offset_x
      - .offset:         88
        .size:           8
        .value_kind:     hidden_global_offset_y
      - .offset:         96
        .size:           8
        .value_kind:     hidden_global_offset_z
      - .offset:         104
        .size:           2
        .value_kind:     hidden_grid_dims
    .group_segment_fixed_size: 0
    .kernarg_segment_align: 8
    .kernarg_segment_size: 296
    .language:       OpenCL C
    .language_version:
      - 2
      - 0
    .max_flat_workgroup_size: 1024
    .name:           _Z34scaled_masked_softmax_warp_forwardI14__hip_bfloat16S0_fLi2EEvPT0_PKT_PKhT1_iii
    .private_segment_fixed_size: 0
    .sgpr_count:     24
    .sgpr_spill_count: 0
    .symbol:         _Z34scaled_masked_softmax_warp_forwardI14__hip_bfloat16S0_fLi2EEvPT0_PKT_PKhT1_iii.kd
    .uniform_work_group_size: 1
    .uses_dynamic_stack: false
    .vgpr_count:     15
    .vgpr_spill_count: 0
    .wavefront_size: 64
  - .agpr_count:     0
    .args:
      - .address_space:  global
        .offset:         0
        .size:           8
        .value_kind:     global_buffer
      - .address_space:  global
        .offset:         8
        .size:           8
        .value_kind:     global_buffer
      - .address_space:  global
        .offset:         16
        .size:           8
        .value_kind:     global_buffer
      - .offset:         24
        .size:           4
        .value_kind:     by_value
      - .offset:         28
        .size:           4
        .value_kind:     by_value
      - .offset:         32
        .size:           4
        .value_kind:     by_value
      - .offset:         36
        .size:           4
        .value_kind:     by_value
      - .offset:         40
        .size:           4
        .value_kind:     hidden_block_count_x
      - .offset:         44
        .size:           4
        .value_kind:     hidden_block_count_y
      - .offset:         48
        .size:           4
        .value_kind:     hidden_block_count_z
      - .offset:         52
        .size:           2
        .value_kind:     hidden_group_size_x
      - .offset:         54
        .size:           2
        .value_kind:     hidden_group_size_y
      - .offset:         56
        .size:           2
        .value_kind:     hidden_group_size_z
      - .offset:         58
        .size:           2
        .value_kind:     hidden_remainder_x
      - .offset:         60
        .size:           2
        .value_kind:     hidden_remainder_y
      - .offset:         62
        .size:           2
        .value_kind:     hidden_remainder_z
      - .offset:         80
        .size:           8
        .value_kind:     hidden_global_offset_x
      - .offset:         88
        .size:           8
        .value_kind:     hidden_global_offset_y
      - .offset:         96
        .size:           8
        .value_kind:     hidden_global_offset_z
      - .offset:         104
        .size:           2
        .value_kind:     hidden_grid_dims
    .group_segment_fixed_size: 0
    .kernarg_segment_align: 8
    .kernarg_segment_size: 296
    .language:       OpenCL C
    .language_version:
      - 2
      - 0
    .max_flat_workgroup_size: 1024
    .name:           _Z34scaled_masked_softmax_warp_forwardI14__hip_bfloat16S0_fLi3EEvPT0_PKT_PKhT1_iii
    .private_segment_fixed_size: 0
    .sgpr_count:     24
    .sgpr_spill_count: 0
    .symbol:         _Z34scaled_masked_softmax_warp_forwardI14__hip_bfloat16S0_fLi3EEvPT0_PKT_PKhT1_iii.kd
    .uniform_work_group_size: 1
    .uses_dynamic_stack: false
    .vgpr_count:     16
    .vgpr_spill_count: 0
    .wavefront_size: 64
  - .agpr_count:     0
    .args:
      - .address_space:  global
        .offset:         0
        .size:           8
        .value_kind:     global_buffer
      - .address_space:  global
        .offset:         8
        .size:           8
        .value_kind:     global_buffer
      - .address_space:  global
        .offset:         16
        .size:           8
        .value_kind:     global_buffer
      - .offset:         24
        .size:           4
        .value_kind:     by_value
      - .offset:         28
        .size:           4
        .value_kind:     by_value
      - .offset:         32
        .size:           4
        .value_kind:     by_value
      - .offset:         36
        .size:           4
        .value_kind:     by_value
      - .offset:         40
        .size:           4
        .value_kind:     hidden_block_count_x
      - .offset:         44
        .size:           4
        .value_kind:     hidden_block_count_y
      - .offset:         48
        .size:           4
        .value_kind:     hidden_block_count_z
      - .offset:         52
        .size:           2
        .value_kind:     hidden_group_size_x
      - .offset:         54
        .size:           2
        .value_kind:     hidden_group_size_y
      - .offset:         56
        .size:           2
        .value_kind:     hidden_group_size_z
      - .offset:         58
        .size:           2
        .value_kind:     hidden_remainder_x
      - .offset:         60
        .size:           2
        .value_kind:     hidden_remainder_y
      - .offset:         62
        .size:           2
        .value_kind:     hidden_remainder_z
      - .offset:         80
        .size:           8
        .value_kind:     hidden_global_offset_x
      - .offset:         88
        .size:           8
        .value_kind:     hidden_global_offset_y
      - .offset:         96
        .size:           8
        .value_kind:     hidden_global_offset_z
      - .offset:         104
        .size:           2
        .value_kind:     hidden_grid_dims
    .group_segment_fixed_size: 0
    .kernarg_segment_align: 8
    .kernarg_segment_size: 296
    .language:       OpenCL C
    .language_version:
      - 2
      - 0
    .max_flat_workgroup_size: 1024
    .name:           _Z34scaled_masked_softmax_warp_forwardI14__hip_bfloat16S0_fLi4EEvPT0_PKT_PKhT1_iii
    .private_segment_fixed_size: 0
    .sgpr_count:     24
    .sgpr_spill_count: 0
    .symbol:         _Z34scaled_masked_softmax_warp_forwardI14__hip_bfloat16S0_fLi4EEvPT0_PKT_PKhT1_iii.kd
    .uniform_work_group_size: 1
    .uses_dynamic_stack: false
    .vgpr_count:     16
    .vgpr_spill_count: 0
    .wavefront_size: 64
  - .agpr_count:     0
    .args:
      - .address_space:  global
        .offset:         0
        .size:           8
        .value_kind:     global_buffer
      - .address_space:  global
        .offset:         8
        .size:           8
        .value_kind:     global_buffer
      - .address_space:  global
        .offset:         16
        .size:           8
        .value_kind:     global_buffer
      - .offset:         24
        .size:           4
        .value_kind:     by_value
      - .offset:         28
        .size:           4
        .value_kind:     by_value
      - .offset:         32
        .size:           4
        .value_kind:     by_value
      - .offset:         36
        .size:           4
        .value_kind:     by_value
      - .offset:         40
        .size:           4
        .value_kind:     hidden_block_count_x
      - .offset:         44
        .size:           4
        .value_kind:     hidden_block_count_y
      - .offset:         48
        .size:           4
        .value_kind:     hidden_block_count_z
      - .offset:         52
        .size:           2
        .value_kind:     hidden_group_size_x
      - .offset:         54
        .size:           2
        .value_kind:     hidden_group_size_y
      - .offset:         56
        .size:           2
        .value_kind:     hidden_group_size_z
      - .offset:         58
        .size:           2
        .value_kind:     hidden_remainder_x
      - .offset:         60
        .size:           2
        .value_kind:     hidden_remainder_y
      - .offset:         62
        .size:           2
        .value_kind:     hidden_remainder_z
      - .offset:         80
        .size:           8
        .value_kind:     hidden_global_offset_x
      - .offset:         88
        .size:           8
        .value_kind:     hidden_global_offset_y
      - .offset:         96
        .size:           8
        .value_kind:     hidden_global_offset_z
      - .offset:         104
        .size:           2
        .value_kind:     hidden_grid_dims
    .group_segment_fixed_size: 0
    .kernarg_segment_align: 8
    .kernarg_segment_size: 296
    .language:       OpenCL C
    .language_version:
      - 2
      - 0
    .max_flat_workgroup_size: 1024
    .name:           _Z34scaled_masked_softmax_warp_forwardI14__hip_bfloat16S0_fLi5EEvPT0_PKT_PKhT1_iii
    .private_segment_fixed_size: 0
    .sgpr_count:     24
    .sgpr_spill_count: 0
    .symbol:         _Z34scaled_masked_softmax_warp_forwardI14__hip_bfloat16S0_fLi5EEvPT0_PKT_PKhT1_iii.kd
    .uniform_work_group_size: 1
    .uses_dynamic_stack: false
    .vgpr_count:     17
    .vgpr_spill_count: 0
    .wavefront_size: 64
  - .agpr_count:     0
    .args:
      - .address_space:  global
        .offset:         0
        .size:           8
        .value_kind:     global_buffer
      - .address_space:  global
        .offset:         8
        .size:           8
        .value_kind:     global_buffer
      - .address_space:  global
        .offset:         16
        .size:           8
        .value_kind:     global_buffer
      - .offset:         24
        .size:           4
        .value_kind:     by_value
      - .offset:         28
        .size:           4
        .value_kind:     by_value
      - .offset:         32
        .size:           4
        .value_kind:     by_value
      - .offset:         36
        .size:           4
        .value_kind:     by_value
      - .offset:         40
        .size:           4
        .value_kind:     hidden_block_count_x
      - .offset:         44
        .size:           4
        .value_kind:     hidden_block_count_y
      - .offset:         48
        .size:           4
        .value_kind:     hidden_block_count_z
      - .offset:         52
        .size:           2
        .value_kind:     hidden_group_size_x
      - .offset:         54
        .size:           2
        .value_kind:     hidden_group_size_y
      - .offset:         56
        .size:           2
        .value_kind:     hidden_group_size_z
      - .offset:         58
        .size:           2
        .value_kind:     hidden_remainder_x
      - .offset:         60
        .size:           2
        .value_kind:     hidden_remainder_y
      - .offset:         62
        .size:           2
        .value_kind:     hidden_remainder_z
      - .offset:         80
        .size:           8
        .value_kind:     hidden_global_offset_x
      - .offset:         88
        .size:           8
        .value_kind:     hidden_global_offset_y
      - .offset:         96
        .size:           8
        .value_kind:     hidden_global_offset_z
      - .offset:         104
        .size:           2
        .value_kind:     hidden_grid_dims
    .group_segment_fixed_size: 0
    .kernarg_segment_align: 8
    .kernarg_segment_size: 296
    .language:       OpenCL C
    .language_version:
      - 2
      - 0
    .max_flat_workgroup_size: 1024
    .name:           _Z34scaled_masked_softmax_warp_forwardI14__hip_bfloat16S0_fLi6EEvPT0_PKT_PKhT1_iii
    .private_segment_fixed_size: 0
    .sgpr_count:     25
    .sgpr_spill_count: 0
    .symbol:         _Z34scaled_masked_softmax_warp_forwardI14__hip_bfloat16S0_fLi6EEvPT0_PKT_PKhT1_iii.kd
    .uniform_work_group_size: 1
    .uses_dynamic_stack: false
    .vgpr_count:     21
    .vgpr_spill_count: 0
    .wavefront_size: 64
  - .agpr_count:     0
    .args:
      - .address_space:  global
        .offset:         0
        .size:           8
        .value_kind:     global_buffer
      - .address_space:  global
        .offset:         8
        .size:           8
        .value_kind:     global_buffer
      - .address_space:  global
        .offset:         16
        .size:           8
        .value_kind:     global_buffer
      - .offset:         24
        .size:           4
        .value_kind:     by_value
      - .offset:         28
        .size:           4
        .value_kind:     by_value
      - .offset:         32
        .size:           4
        .value_kind:     by_value
      - .offset:         36
        .size:           4
        .value_kind:     by_value
      - .offset:         40
        .size:           4
        .value_kind:     hidden_block_count_x
      - .offset:         44
        .size:           4
        .value_kind:     hidden_block_count_y
      - .offset:         48
        .size:           4
        .value_kind:     hidden_block_count_z
      - .offset:         52
        .size:           2
        .value_kind:     hidden_group_size_x
      - .offset:         54
        .size:           2
        .value_kind:     hidden_group_size_y
      - .offset:         56
        .size:           2
        .value_kind:     hidden_group_size_z
      - .offset:         58
        .size:           2
        .value_kind:     hidden_remainder_x
      - .offset:         60
        .size:           2
        .value_kind:     hidden_remainder_y
      - .offset:         62
        .size:           2
        .value_kind:     hidden_remainder_z
      - .offset:         80
        .size:           8
        .value_kind:     hidden_global_offset_x
      - .offset:         88
        .size:           8
        .value_kind:     hidden_global_offset_y
      - .offset:         96
        .size:           8
        .value_kind:     hidden_global_offset_z
      - .offset:         104
        .size:           2
        .value_kind:     hidden_grid_dims
    .group_segment_fixed_size: 0
    .kernarg_segment_align: 8
    .kernarg_segment_size: 296
    .language:       OpenCL C
    .language_version:
      - 2
      - 0
    .max_flat_workgroup_size: 1024
    .name:           _Z34scaled_masked_softmax_warp_forwardI14__hip_bfloat16S0_fLi7EEvPT0_PKT_PKhT1_iii
    .private_segment_fixed_size: 0
    .sgpr_count:     24
    .sgpr_spill_count: 0
    .symbol:         _Z34scaled_masked_softmax_warp_forwardI14__hip_bfloat16S0_fLi7EEvPT0_PKT_PKhT1_iii.kd
    .uniform_work_group_size: 1
    .uses_dynamic_stack: false
    .vgpr_count:     26
    .vgpr_spill_count: 0
    .wavefront_size: 64
  - .agpr_count:     0
    .args:
      - .address_space:  global
        .offset:         0
        .size:           8
        .value_kind:     global_buffer
      - .address_space:  global
        .offset:         8
        .size:           8
        .value_kind:     global_buffer
      - .address_space:  global
        .offset:         16
        .size:           8
        .value_kind:     global_buffer
      - .offset:         24
        .size:           4
        .value_kind:     by_value
      - .offset:         28
        .size:           4
        .value_kind:     by_value
      - .offset:         32
        .size:           4
        .value_kind:     by_value
      - .offset:         36
        .size:           4
        .value_kind:     by_value
      - .offset:         40
        .size:           4
        .value_kind:     hidden_block_count_x
      - .offset:         44
        .size:           4
        .value_kind:     hidden_block_count_y
      - .offset:         48
        .size:           4
        .value_kind:     hidden_block_count_z
      - .offset:         52
        .size:           2
        .value_kind:     hidden_group_size_x
      - .offset:         54
        .size:           2
        .value_kind:     hidden_group_size_y
      - .offset:         56
        .size:           2
        .value_kind:     hidden_group_size_z
      - .offset:         58
        .size:           2
        .value_kind:     hidden_remainder_x
      - .offset:         60
        .size:           2
        .value_kind:     hidden_remainder_y
      - .offset:         62
        .size:           2
        .value_kind:     hidden_remainder_z
      - .offset:         80
        .size:           8
        .value_kind:     hidden_global_offset_x
      - .offset:         88
        .size:           8
        .value_kind:     hidden_global_offset_y
      - .offset:         96
        .size:           8
        .value_kind:     hidden_global_offset_z
      - .offset:         104
        .size:           2
        .value_kind:     hidden_grid_dims
    .group_segment_fixed_size: 0
    .kernarg_segment_align: 8
    .kernarg_segment_size: 296
    .language:       OpenCL C
    .language_version:
      - 2
      - 0
    .max_flat_workgroup_size: 1024
    .name:           _Z34scaled_masked_softmax_warp_forwardI14__hip_bfloat16S0_fLi8EEvPT0_PKT_PKhT1_iii
    .private_segment_fixed_size: 0
    .sgpr_count:     25
    .sgpr_spill_count: 0
    .symbol:         _Z34scaled_masked_softmax_warp_forwardI14__hip_bfloat16S0_fLi8EEvPT0_PKT_PKhT1_iii.kd
    .uniform_work_group_size: 1
    .uses_dynamic_stack: false
    .vgpr_count:     23
    .vgpr_spill_count: 0
    .wavefront_size: 64
  - .agpr_count:     0
    .args:
      - .address_space:  global
        .offset:         0
        .size:           8
        .value_kind:     global_buffer
      - .address_space:  global
        .offset:         8
        .size:           8
        .value_kind:     global_buffer
      - .address_space:  global
        .offset:         16
        .size:           8
        .value_kind:     global_buffer
      - .offset:         24
        .size:           4
        .value_kind:     by_value
      - .offset:         28
        .size:           4
        .value_kind:     by_value
      - .offset:         32
        .size:           4
        .value_kind:     by_value
      - .offset:         36
        .size:           4
        .value_kind:     by_value
      - .offset:         40
        .size:           4
        .value_kind:     hidden_block_count_x
      - .offset:         44
        .size:           4
        .value_kind:     hidden_block_count_y
      - .offset:         48
        .size:           4
        .value_kind:     hidden_block_count_z
      - .offset:         52
        .size:           2
        .value_kind:     hidden_group_size_x
      - .offset:         54
        .size:           2
        .value_kind:     hidden_group_size_y
      - .offset:         56
        .size:           2
        .value_kind:     hidden_group_size_z
      - .offset:         58
        .size:           2
        .value_kind:     hidden_remainder_x
      - .offset:         60
        .size:           2
        .value_kind:     hidden_remainder_y
      - .offset:         62
        .size:           2
        .value_kind:     hidden_remainder_z
      - .offset:         80
        .size:           8
        .value_kind:     hidden_global_offset_x
      - .offset:         88
        .size:           8
        .value_kind:     hidden_global_offset_y
      - .offset:         96
        .size:           8
        .value_kind:     hidden_global_offset_z
      - .offset:         104
        .size:           2
        .value_kind:     hidden_grid_dims
    .group_segment_fixed_size: 0
    .kernarg_segment_align: 8
    .kernarg_segment_size: 296
    .language:       OpenCL C
    .language_version:
      - 2
      - 0
    .max_flat_workgroup_size: 1024
    .name:           _Z34scaled_masked_softmax_warp_forwardI14__hip_bfloat16S0_fLi9EEvPT0_PKT_PKhT1_iii
    .private_segment_fixed_size: 0
    .sgpr_count:     25
    .sgpr_spill_count: 0
    .symbol:         _Z34scaled_masked_softmax_warp_forwardI14__hip_bfloat16S0_fLi9EEvPT0_PKT_PKhT1_iii.kd
    .uniform_work_group_size: 1
    .uses_dynamic_stack: false
    .vgpr_count:     32
    .vgpr_spill_count: 0
    .wavefront_size: 64
  - .agpr_count:     0
    .args:
      - .address_space:  global
        .offset:         0
        .size:           8
        .value_kind:     global_buffer
      - .address_space:  global
        .offset:         8
        .size:           8
        .value_kind:     global_buffer
      - .address_space:  global
        .offset:         16
        .size:           8
        .value_kind:     global_buffer
      - .offset:         24
        .size:           4
        .value_kind:     by_value
      - .offset:         28
        .size:           4
        .value_kind:     by_value
      - .offset:         32
        .size:           4
        .value_kind:     by_value
      - .offset:         36
        .size:           4
        .value_kind:     by_value
      - .offset:         40
        .size:           4
        .value_kind:     hidden_block_count_x
      - .offset:         44
        .size:           4
        .value_kind:     hidden_block_count_y
      - .offset:         48
        .size:           4
        .value_kind:     hidden_block_count_z
      - .offset:         52
        .size:           2
        .value_kind:     hidden_group_size_x
      - .offset:         54
        .size:           2
        .value_kind:     hidden_group_size_y
      - .offset:         56
        .size:           2
        .value_kind:     hidden_group_size_z
      - .offset:         58
        .size:           2
        .value_kind:     hidden_remainder_x
      - .offset:         60
        .size:           2
        .value_kind:     hidden_remainder_y
      - .offset:         62
        .size:           2
        .value_kind:     hidden_remainder_z
      - .offset:         80
        .size:           8
        .value_kind:     hidden_global_offset_x
      - .offset:         88
        .size:           8
        .value_kind:     hidden_global_offset_y
      - .offset:         96
        .size:           8
        .value_kind:     hidden_global_offset_z
      - .offset:         104
        .size:           2
        .value_kind:     hidden_grid_dims
    .group_segment_fixed_size: 0
    .kernarg_segment_align: 8
    .kernarg_segment_size: 296
    .language:       OpenCL C
    .language_version:
      - 2
      - 0
    .max_flat_workgroup_size: 1024
    .name:           _Z34scaled_masked_softmax_warp_forwardI14__hip_bfloat16S0_fLi10EEvPT0_PKT_PKhT1_iii
    .private_segment_fixed_size: 0
    .sgpr_count:     25
    .sgpr_spill_count: 0
    .symbol:         _Z34scaled_masked_softmax_warp_forwardI14__hip_bfloat16S0_fLi10EEvPT0_PKT_PKhT1_iii.kd
    .uniform_work_group_size: 1
    .uses_dynamic_stack: false
    .vgpr_count:     50
    .vgpr_spill_count: 0
    .wavefront_size: 64
amdhsa.target:   amdgcn-amd-amdhsa--gfx950
amdhsa.version:
  - 1
  - 2
...

	.end_amdgpu_metadata
